;; amdgpu-corpus repo=ROCm/aiter kind=harvested arch=n/a opt=n/a

/root/src/amdgpu-assembly/repos/ROCm__aiter/hsa/gfx942/fmha_v3_bwd/bwd_hd192_bf16_causal_a32_rtne_psskddv.co:	file format elf64-amdgpu

Disassembly of section .text:

0000000000003e00 <_ZN5aiter43fmha_bwd_hd192_bf16_causal_a32_rtne_psskddvE>:
	s_and_b32 s1, s1, 0xffff                                   // 000000003E00: 8601FF01 0000FFFF
	s_load_dwordx2 s[32:33], s[0:1], 0x0                       // 000000003E08: C0060800 00000000
	s_load_dwordx2 s[36:37], s[0:1], 0x10                      // 000000003E10: C0060900 00000010
	s_load_dwordx2 s[40:41], s[0:1], 0x20                      // 000000003E18: C0060A00 00000020
	s_load_dwordx2 s[8:9], s[0:1], 0x30                        // 000000003E20: C0060200 00000030
	s_load_dwordx2 s[12:13], s[0:1], 0x40                      // 000000003E28: C0060300 00000040
	s_load_dwordx2 s[16:17], s[0:1], 0x50                      // 000000003E30: C0060400 00000050
	s_load_dwordx2 s[20:21], s[0:1], 0x60                      // 000000003E38: C0060500 00000060
	s_load_dwordx2 s[24:25], s[0:1], 0x70                      // 000000003E40: C0060600 00000070
	s_load_dwordx2 s[28:29], s[0:1], 0x80                      // 000000003E48: C0060700 00000080
	s_load_dword s47, s[0:1], 0x90                             // 000000003E50: C0020BC0 00000090
	s_load_dword s48, s[0:1], 0xa0                             // 000000003E58: C0020C00 000000A0
	s_load_dword s49, s[0:1], 0xb0                             // 000000003E60: C0020C40 000000B0
	s_load_dword s78, s[0:1], 0xd0                             // 000000003E68: C0021380 000000D0
	s_load_dword s79, s[0:1], 0xe0                             // 000000003E70: C00213C0 000000E0
	s_load_dword s5, s[0:1], 0xf0                              // 000000003E78: C0020140 000000F0
	s_load_dword s44, s[0:1], 0x100                            // 000000003E80: C0020B00 00000100
	s_load_dword s80, s[0:1], 0x110                            // 000000003E88: C0021400 00000110
	s_load_dword s81, s[0:1], 0x120                            // 000000003E90: C0021440 00000120
	s_load_dword s6, s[0:1], 0x130                             // 000000003E98: C0020180 00000130
	s_load_dword s52, s[0:1], 0x140                            // 000000003EA0: C0020D00 00000140
	s_load_dword s50, s[0:1], 0x150                            // 000000003EA8: C0020C80 00000150
	s_load_dword s98, s[0:1], 0x160                            // 000000003EB0: C0021880 00000160
	s_load_dword s72, s[0:1], 0x180                            // 000000003EB8: C0021200 00000180
	s_load_dword s90, s[0:1], 0x190                            // 000000003EC0: C0021680 00000190
	s_load_dword s91, s[0:1], 0x1a0                            // 000000003EC8: C00216C0 000001A0
	s_load_dword s7, s[0:1], 0x1b0                             // 000000003ED0: C00201C0 000001B0
	s_load_dword s92, s[0:1], 0x1c0                            // 000000003ED8: C0021700 000001C0
	s_load_dword s93, s[0:1], 0x1d0                            // 000000003EE0: C0021740 000001D0
	s_load_dword s51, s[0:1], 0x1e0                            // 000000003EE8: C0020CC0 000001E0
	s_load_dword s94, s[0:1], 0x1f0                            // 000000003EF0: C0021780 000001F0
	s_load_dword s95, s[0:1], 0x200                            // 000000003EF8: C00217C0 00000200
	s_load_dword s96, s[0:1], 0x210                            // 000000003F00: C0021800 00000210
	s_load_dword s97, s[0:1], 0x220                            // 000000003F08: C0021840 00000220
	s_load_dword s53, s[0:1], 0x230                            // 000000003F10: C0020D40 00000230
	v_lshrrev_b32_e32 v1, 10, v0                               // 000000003F18: 2002008A
	v_lshrrev_b32_e32 v2, 10, v1                               // 000000003F1C: 2004028A
	v_and_b32_e32 v2, 0x3ff, v2                                // 000000003F20: 260404FF 000003FF
	v_and_b32_e32 v1, 0x3ff, v1                                // 000000003F28: 260202FF 000003FF
	v_and_b32_e32 v0, 0x3ff, v0                                // 000000003F30: 260000FF 000003FF
	v_lshrrev_b32_e32 v3, 6, v0                                // 000000003F38: 20060086
	v_and_b32_e32 v0, 63, v0                                   // 000000003F3C: 260000BF
	s_mov_b32 s2, s2                                           // 000000003F40: BE820002
	s_mov_b32 s3, s3                                           // 000000003F44: BE830003
	s_mov_b32 s4, s4                                           // 000000003F48: BE840004
	v_readfirstlane_b32 s46, v3                                // 000000003F4C: 7E5C0503
	s_waitcnt lgkmcnt(0)                                       // 000000003F50: BF8CC07F
	s_mov_b32 s11, 0x20000                                     // 000000003F54: BE8B00FF 00020000
	s_mov_b32 s15, 0x20000                                     // 000000003F5C: BE8F00FF 00020000
	s_mov_b32 s19, 0x20000                                     // 000000003F64: BE9300FF 00020000
	s_mov_b32 s23, 0x20000                                     // 000000003F6C: BE9700FF 00020000
	s_mov_b32 s27, 0x20000                                     // 000000003F74: BE9B00FF 00020000
	s_mov_b32 s31, 0x20000                                     // 000000003F7C: BE9F00FF 00020000
	s_mov_b32 s35, 0x20000                                     // 000000003F84: BEA300FF 00020000
	s_mov_b32 s39, 0x20000                                     // 000000003F8C: BEA700FF 00020000
	s_mov_b32 s43, 0x20000                                     // 000000003F94: BEAB00FF 00020000
	s_and_b32 s9, s9, 0xffff                                   // 000000003F9C: 8609FF09 0000FFFF
	s_and_b32 s13, s13, 0xffff                                 // 000000003FA4: 860DFF0D 0000FFFF
	s_and_b32 s17, s17, 0xffff                                 // 000000003FAC: 8611FF11 0000FFFF
	s_and_b32 s21, s21, 0xffff                                 // 000000003FB4: 8615FF15 0000FFFF
	s_and_b32 s25, s25, 0xffff                                 // 000000003FBC: 8619FF19 0000FFFF
	s_and_b32 s29, s29, 0xffff                                 // 000000003FC4: 861DFF1D 0000FFFF
	s_and_b32 s33, s33, 0xffff                                 // 000000003FCC: 8621FF21 0000FFFF
	s_and_b32 s37, s37, 0xffff                                 // 000000003FD4: 8625FF25 0000FFFF
	s_and_b32 s41, s41, 0xffff                                 // 000000003FDC: 8629FF29 0000FFFF
	s_or_b32 s9, s9, 0x40000                                   // 000000003FE4: 8709FF09 00040000
	s_or_b32 s13, s13, 0x40000                                 // 000000003FEC: 870DFF0D 00040000
	s_or_b32 s17, s17, 0x40000                                 // 000000003FF4: 8711FF11 00040000
	s_or_b32 s21, s21, 0x40000                                 // 000000003FFC: 8715FF15 00040000
	s_or_b32 s25, s25, 0x40000                                 // 000000004004: 8719FF19 00040000
	s_or_b32 s29, s29, 0x40000                                 // 00000000400C: 871DFF1D 00040000
	s_or_b32 s33, s33, 0x40000                                 // 000000004014: 8721FF21 00040000
	s_or_b32 s37, s37, 0x40000                                 // 00000000401C: 8725FF25 00040000
	s_or_b32 s41, s41, 0x40000                                 // 000000004024: 8729FF29 00040000
	v_accvgpr_write_b32 a143, 0                                // 00000000402C: D3D9408F 18000080
	v_mov_b32_e32 v213, 0                                      // 000000004034: 7FAA0280
	s_mov_b32 s71, s3                                          // 000000004038: BEC70003
	v_cvt_f32_u32_e32 v28, s44                                 // 00000000403C: 7E380C2C
	s_sub_i32 s60, 0, s44                                      // 000000004040: 81BC2C80
	v_rcp_iflag_f32_e32 v28, v28                               // 000000004044: 7E38471C
	s_nop 0                                                    // 000000004048: BF800000
	v_mul_f32_e32 v28, 0x4f7ffffe, v28                         // 00000000404C: 0A3838FF 4F7FFFFE
	v_cvt_u32_f32_e32 v28, v28                                 // 000000004054: 7E380F1C
	v_mul_lo_u32 v29, s60, v28                                 // 000000004058: D285001D 0002383C
	v_mul_hi_u32 v29, v28, v29                                 // 000000004060: D286001D 00023B1C
	v_add_u32_e32 v28, v28, v29                                // 000000004068: 68383B1C
	v_mul_hi_u32 v28, s71, v28                                 // 00000000406C: D286001C 00023847
	v_mul_lo_u32 v29, v28, s44                                 // 000000004074: D285001D 0000591C
	v_sub_u32_e32 v31, s71, v29                                // 00000000407C: 6A3E3A47
	v_add_u32_e32 v30, 1, v28                                  // 000000004080: 683C3881
	v_cmp_le_u32_e32 vcc, s44, v31                             // 000000004084: 7D963E2C
	v_subrev_u32_e32 v29, s44, v31                             // 000000004088: 6C3A3E2C
	s_nop 0                                                    // 00000000408C: BF800000
	v_cndmask_b32_e32 v28, v28, v30, vcc                       // 000000004090: 00383D1C
	v_cndmask_b32_e32 v31, v31, v29, vcc                       // 000000004094: 003E3B1F
	v_add_u32_e32 v29, 1, v28                                  // 000000004098: 683A3881
	v_cmp_le_u32_e32 vcc, s44, v31                             // 00000000409C: 7D963E2C
	s_nop 1                                                    // 0000000040A0: BF800001
	v_cndmask_b32_e32 v31, v28, v29, vcc                       // 0000000040A4: 003E3B1C
	s_nop 3                                                    // 0000000040A8: BF800003
	v_readfirstlane_b32 s45, v31                               // 0000000040AC: 7E5A051F
	s_nop 3                                                    // 0000000040B0: BF800003
	s_mul_i32 s61, s45, s80                                    // 0000000040B4: 923D502D
	s_mov_b32 s54, s61                                         // 0000000040B8: BEB6003D
	s_add_u32 s12, s54, s12                                    // 0000000040BC: 800C0C36
	s_addc_u32 s13, 0, s13                                     // 0000000040C0: 820D0D80
	s_mul_i32 s60, s4, s81                                     // 0000000040C4: 923C5104
	s_mul_hi_u32 s61, s4, s81                                  // 0000000040C8: 963D5104
	s_and_b32 s61, s61, 0xffff                                 // 0000000040CC: 863DFF3D 0000FFFF
	s_add_u32 s12, s12, s60                                    // 0000000040D4: 800C3C0C
	s_addc_u32 s13, s13, s61                                   // 0000000040D8: 820D3D0D
	s_mul_i32 s61, s45, s90                                    // 0000000040DC: 923D5A2D
	s_mov_b32 s54, s61                                         // 0000000040E0: BEB6003D
	s_add_u32 s16, s54, s16                                    // 0000000040E4: 80101036
	s_addc_u32 s17, 0, s17                                     // 0000000040E8: 82111180
	s_mul_i32 s60, s4, s91                                     // 0000000040EC: 923C5B04
	s_mul_hi_u32 s61, s4, s91                                  // 0000000040F0: 963D5B04
	s_and_b32 s61, s61, 0xffff                                 // 0000000040F4: 863DFF3D 0000FFFF
	s_add_u32 s16, s16, s60                                    // 0000000040FC: 80103C10
	s_addc_u32 s17, s17, s61                                   // 000000004100: 82113D11
	s_mul_i32 s61, s3, s78                                     // 000000004104: 923D4E03
	s_mov_b32 s55, s61                                         // 000000004108: BEB7003D
	s_add_u32 s8, s55, s8                                      // 00000000410C: 80080837
	s_addc_u32 s9, 0, s9                                       // 000000004110: 82090980
	s_mul_i32 s60, s4, s79                                     // 000000004114: 923C4F04
	s_mul_hi_u32 s61, s4, s79                                  // 000000004118: 963D4F04
	s_and_b32 s61, s61, 0xffff                                 // 00000000411C: 863DFF3D 0000FFFF
	s_add_u32 s8, s8, s60                                      // 000000004124: 80083C08
	s_addc_u32 s9, s9, s61                                     // 000000004128: 82093D09
	s_mul_i32 s61, s3, s92                                     // 00000000412C: 923D5C03
	s_mov_b32 s56, s61                                         // 000000004130: BEB8003D
	s_add_u32 s20, s56, s20                                    // 000000004134: 80141438
	s_addc_u32 s21, 0, s21                                     // 000000004138: 82151580
	s_mul_i32 s60, s4, s93                                     // 00000000413C: 923C5D04
	s_mul_hi_u32 s61, s4, s93                                  // 000000004140: 963D5D04
	s_and_b32 s61, s61, 0xffff                                 // 000000004144: 863DFF3D 0000FFFF
	s_add_u32 s20, s20, s60                                    // 00000000414C: 80143C14
	s_addc_u32 s21, s21, s61                                   // 000000004150: 82153D15
	s_mul_i32 s62, s4, s72                                     // 000000004154: 923E4804
	s_mul_i32 s62, s62, s49                                    // 000000004158: 923E313E
	s_lshl_b32 s62, s62, 2                                     // 00000000415C: 8E3E823E
	s_mul_i32 s61, s3, s49                                     // 000000004160: 923D3103
	s_mul_i32 s61, 4, s61                                      // 000000004164: 923D3D84
	s_add_u32 s65, s61, s62                                    // 000000004168: 80413E3D
	s_mov_b32 s26, s49                                         // 00000000416C: BE9A0031
	s_mov_b32 s30, s49                                         // 000000004170: BE9E0031
	s_add_u32 s24, s65, s24                                    // 000000004174: 80181841
	s_addc_u32 s25, 0, s25                                     // 000000004178: 82191980
	s_add_u32 s28, s65, s28                                    // 00000000417C: 801C1C41
	s_addc_u32 s29, 0, s29                                     // 000000004180: 821D1D80
	s_mul_i32 s61, s3, s94                                     // 000000004184: 923D5E03
	s_mul_i32 s62, s4, s95                                     // 000000004188: 923E5F04
	s_add_u32 s60, s61, s62                                    // 00000000418C: 803C3E3D
	s_mul_hi_u32 s61, s4, s95                                  // 000000004190: 963D5F04
	s_and_b32 s61, s61, 0xffff                                 // 000000004194: 863DFF3D 0000FFFF
	s_add_u32 s36, s60, s36                                    // 00000000419C: 8024243C
	s_addc_u32 s37, s61, s37                                   // 0000000041A0: 8225253D
	s_mul_i32 s60, s50, s52                                    // 0000000041A4: 923C3432
	s_lshr_b32 s60, s60, 2                                     // 0000000041A8: 8F3C823C
	s_mov_b32 s38, s60                                         // 0000000041AC: BEA6003C
	s_mul_i32 s61, s3, s96                                     // 0000000041B0: 923D6003
	s_mul_i32 s62, s4, s97                                     // 0000000041B4: 923E6104
	s_add_u32 s60, s61, s62                                    // 0000000041B8: 803C3E3D
	s_mul_hi_u32 s61, s4, s97                                  // 0000000041BC: 963D6104
	s_and_b32 s61, s61, 0xffff                                 // 0000000041C0: 863DFF3D 0000FFFF
	s_add_u32 s40, s60, s40                                    // 0000000041C8: 8028283C
	s_addc_u32 s41, s61, s41                                   // 0000000041CC: 8229293D
	s_mul_i32 s60, s50, s53                                    // 0000000041D0: 923C3532
	s_lshr_b32 s60, s60, 2                                     // 0000000041D4: 8F3C823C
	s_mov_b32 s42, s60                                         // 0000000041D8: BEAA003C
	s_mul_i32 s60, s98, s65                                    // 0000000041DC: 923C4162
	s_mul_hi_u32 s62, s98, s65                                 // 0000000041E0: 963E4162
	s_and_b32 s62, s62, 0xffff                                 // 0000000041E4: 863EFF3E 0000FFFF
	s_add_u32 s32, s60, s32                                    // 0000000041EC: 8020203C
	s_addc_u32 s33, s62, s33                                   // 0000000041F0: 8221213E
	s_mul_i32 s60, s98, s49                                    // 0000000041F4: 923C3162
	s_lshl_b32 s60, s60, 2                                     // 0000000041F8: 8E3C823C
	s_mov_b32 s34, s60                                         // 0000000041FC: BEA2003C
	s_mov_b32 s82, s8                                          // 000000004200: BED20008
	s_mov_b32 s84, s12                                         // 000000004204: BED4000C
	s_mov_b32 s86, s16                                         // 000000004208: BED60010
	s_mov_b32 s88, s20                                         // 00000000420C: BED80014
	s_mov_b32 s83, s9                                          // 000000004210: BED30009
	s_mov_b32 s85, s13                                         // 000000004214: BED5000D
	s_mov_b32 s87, s17                                         // 000000004218: BED70011
	s_mov_b32 s89, s21                                         // 00000000421C: BED90015
	s_add_u32 s71, 63, s50                                     // 000000004220: 804732BF
	s_mov_b32 s74, 64                                          // 000000004224: BECA00C0
	v_cvt_f32_u32_e32 v28, s74                                 // 000000004228: 7E380C4A
	s_sub_i32 s60, 0, s74                                      // 00000000422C: 81BC4A80
	v_rcp_iflag_f32_e32 v28, v28                               // 000000004230: 7E38471C
	s_nop 0                                                    // 000000004234: BF800000
	v_mul_f32_e32 v28, 0x4f7ffffe, v28                         // 000000004238: 0A3838FF 4F7FFFFE
	v_cvt_u32_f32_e32 v28, v28                                 // 000000004240: 7E380F1C
	v_mul_lo_u32 v29, s60, v28                                 // 000000004244: D285001D 0002383C
	v_mul_hi_u32 v29, v28, v29                                 // 00000000424C: D286001D 00023B1C
	v_add_u32_e32 v28, v28, v29                                // 000000004254: 68383B1C
	v_mul_hi_u32 v28, s71, v28                                 // 000000004258: D286001C 00023847
	v_mul_lo_u32 v29, v28, s74                                 // 000000004260: D285001D 0000951C
	v_sub_u32_e32 v31, s71, v29                                // 000000004268: 6A3E3A47
	v_add_u32_e32 v30, 1, v28                                  // 00000000426C: 683C3881
	v_cmp_le_u32_e32 vcc, s74, v31                             // 000000004270: 7D963E4A
	v_subrev_u32_e32 v29, s74, v31                             // 000000004274: 6C3A3E4A
	s_nop 0                                                    // 000000004278: BF800000
	v_cndmask_b32_e32 v28, v28, v30, vcc                       // 00000000427C: 00383D1C
	v_cndmask_b32_e32 v31, v31, v29, vcc                       // 000000004280: 003E3B1F
	v_add_u32_e32 v29, 1, v28                                  // 000000004284: 683A3881
	v_cmp_le_u32_e32 vcc, s74, v31                             // 000000004288: 7D963E4A
	s_nop 1                                                    // 00000000428C: BF800001
	v_cndmask_b32_e32 v31, v28, v29, vcc                       // 000000004290: 003E3B1C
	s_nop 3                                                    // 000000004294: BF800003
	v_readfirstlane_b32 s77, v31                               // 000000004298: 7E9A051F
	s_nop 3                                                    // 00000000429C: BF800003
	v_mov_b32_e32 v28, s47                                     // 0000000042A0: 7E38022F
	v_mul_f32_e32 v28, s48, v28                                // 0000000042A4: 0A383830
	s_mov_b32 s58, s49                                         // 0000000042A8: BEBA0031
	s_mov_b32 s59, 0                                           // 0000000042AC: BEBB0080
	s_mov_b32 s63, 0x5040100                                   // 0000000042B0: BEBF00FF 05040100
	s_mov_b32 s64, 0x7060302                                   // 0000000042B8: BEC000FF 07060302
	v_readfirstlane_b32 s57, v28                               // 0000000042C0: 7E72051C
	v_mov_b32_e32 v30, 0x3020706                               // 0000000042C4: 7E3C02FF 03020706
	v_mov_b32_e32 v28, s63                                     // 0000000042CC: 7E38023F
	v_and_b32_e32 v29, 1, v0                                   // 0000000042D0: 263A0081
	v_cmp_eq_u32_e32 vcc, 1, v29                               // 0000000042D4: 7D943A81
	s_mul_i32 s60, s98, 64                                     // 0000000042D8: 923CC062
	s_mov_b32 s67, s60                                         // 0000000042DC: BEC3003C
	v_cndmask_b32_e32 v15, v28, v30, vcc                       // 0000000042E0: 001E3D1C
	v_mov_b32_e32 v209, 0xffff0000                             // 0000000042E4: 7FA202FF FFFF0000
	v_mov_b32_e32 v210, 0x7fff0000                             // 0000000042EC: 7FA402FF 7FFF0000
	v_mov_b32_e32 v211, 0x7fff                                 // 0000000042F4: 7FA602FF 00007FFF
	s_cmp_lt_u32 s46, 2                                        // 0000000042FC: BF0A822E
	s_cselect_b32 s24, s24, s28                                // 000000004300: 85181C18
	s_cselect_b32 s25, s25, s29                                // 000000004304: 85191D19
	s_cselect_b32 s26, s26, s30                                // 000000004308: 851A1E1A
	s_cselect_b32 s27, s27, s31                                // 00000000430C: 851B1F1B
	s_lshr_b32 s60, s46, 1                                     // 000000004310: 8F3C812E
	s_lshl_b32 s60, s60, 8                                     // 000000004314: 8E3C883C
	s_add_u32 s80, 0x9f00, s60                                 // 000000004318: 80503CFF 00009F00
	s_add_u32 s81, 0x200, s80                                  // 000000004320: 805150FF 00000200
	s_mov_b32 s75, 0                                           // 000000004328: BECB0080
	s_mov_b32 s76, 1                                           // 00000000432C: BECC0081
	s_lshl_b32 s60, s2, 1                                      // 000000004330: 8E3C8102
	s_add_u32 s60, 1, s60                                      // 000000004334: 803C3C81
	s_cmp_ge_i32 s60, s77                                      // 000000004338: BF034D3C
	s_cselect_b32 s76, s76, 2                                  // 00000000433C: 854C824C
	v_lshrrev_b32_e32 v28, 2, v0                               // 000000004340: 20380082
	v_and_b32_e32 v29, 3, v28                                  // 000000004344: 263A3883
	v_lshrrev_b32_e32 v30, 3, v28                              // 000000004348: 203C3883
	v_lshlrev_b32_e32 v30, 2, v30                              // 00000000434C: 243C3C82
	v_add_u32_e32 v28, v30, v29                                // 000000004350: 68383B1E
	v_mov_b32_e32 v30, s98                                     // 000000004354: 7E3C0262
	v_mov_b32_e32 v29, 0x80                                    // 000000004358: 7E3A02FF 00000080
	v_sub_u32_e32 v30, v30, v29                                // 000000004360: 6A3C3B1E
	v_lshrrev_b32_e32 v30, 3, v30                              // 000000004364: 203C3C83
	v_cmp_lt_u32_e64 s[90:91], v28, v30                        // 000000004368: D0C9005A 00023D1C
	v_and_b32_e32 v28, 31, v0                                  // 000000004370: 2638009F
	v_lshrrev_b32_e32 v28, 3, v28                              // 000000004374: 20383883
	v_mov_b32_e32 v29, s98                                     // 000000004378: 7E3A0262
	v_mov_b32_e32 v30, 0x80                                    // 00000000437C: 7E3C02FF 00000080
	v_sub_u32_e32 v29, v29, v30                                // 000000004384: 6A3A3D1D
	v_lshrrev_b32_e32 v29, 3, v29                              // 000000004388: 203A3A83
	v_cmp_lt_u32_e64 s[94:95], v28, v29                        // 00000000438C: D0C9005E 00023B1C
	v_add_u32_e32 v28, 4, v28                                  // 000000004394: 68383884
	v_cmp_lt_u32_e64 s[96:97], v28, v29                        // 000000004398: D0C90060 00023B1C

00000000000043a0 <label_0168>:
	s_mov_b32 m0, s80                                          // 0000000043A0: BEFC0050
	s_mov_b32 s66, 0                                           // 0000000043A4: BEC20080
	v_mov_b32_e32 v159, 0xff800000                             // 0000000043A8: 7F3E02FF FF800000
	s_mov_b32 s74, 0                                           // 0000000043B0: BECA0080
	s_mul_i32 s68, 4, s5                                       // 0000000043B4: 92440584
	s_mul_i32 s99, 4, s51                                      // 0000000043B8: 92633384
	s_mov_b32 s69, 16                                          // 0000000043BC: BEC50090
	s_mul_i32 s59, 64, s2                                      // 0000000043C0: 923B02C0
	s_mul_i32 s54, s6, s59                                     // 0000000043C4: 92363B06
	s_sub_i32 s61, s50, s59                                    // 0000000043C8: 81BD3B32
	s_mul_i32 s62, s6, s61                                     // 0000000043CC: 923E3D06
	s_lshr_b32 s62, s62, 2                                     // 0000000043D0: 8F3E823E
	s_mov_b32 s14, s62                                         // 0000000043D4: BE8E003E
	s_add_u32 s12, s54, s84                                    // 0000000043D8: 800C5436
	s_addc_u32 s13, 0, s85                                     // 0000000043DC: 820D5580
	s_mul_i32 s54, s7, s59                                     // 0000000043E0: 92363B07
	s_mul_i32 s62, s7, s61                                     // 0000000043E4: 923E3D07
	s_lshr_b32 s62, s62, 2                                     // 0000000043E8: 8F3E823E
	s_mov_b32 s18, s62                                         // 0000000043EC: BE92003E
	s_add_u32 s16, s54, s86                                    // 0000000043F0: 80105636
	s_addc_u32 s17, 0, s87                                     // 0000000043F4: 82115780
	s_mov_b32 s71, s6                                          // 0000000043F8: BEC70006
	v_lshrrev_b32_e32 v28, 4, v0                               // 0000000043FC: 20380084
	v_and_b32_e32 v29, 1, v28                                  // 000000004400: 263A3881
	v_lshlrev_b32_e32 v29, 1, v29                              // 000000004404: 243A3A81
	v_mul_i32_i24_e32 v29, s71, v29                            // 000000004408: 0C3A3A47
	v_and_b32_e32 v30, 2, v28                                  // 00000000440C: 263C3882
	v_lshlrev_b32_e32 v30, 5, v30                              // 000000004410: 243C3C85
	v_add_u32_e32 v29, v30, v29                                // 000000004414: 683A3B1E
	v_and_b32_e32 v28, 15, v0                                  // 000000004418: 2638008F
	v_lshlrev_b32_e32 v28, 2, v28                              // 00000000441C: 24383882
	v_add_u32_e32 v1, v28, v29                                 // 000000004420: 68023B1C
	s_mul_i32 s60, s46, s71                                    // 000000004424: 923C472E
	s_mul_i32 s60, s60, 4                                      // 000000004428: 923C843C
	v_add_u32_e32 v1, s60, v1                                  // 00000000442C: 6802023C
	v_add_u32_e32 v2, s71, v1                                  // 000000004430: 68040247
	s_mov_b32 s71, s7                                          // 000000004434: BEC70007
	v_lshrrev_b32_e32 v28, 4, v0                               // 000000004438: 20380084
	v_and_b32_e32 v29, 1, v28                                  // 00000000443C: 263A3881
	v_lshlrev_b32_e32 v29, 1, v29                              // 000000004440: 243A3A81
	v_mul_i32_i24_e32 v29, s71, v29                            // 000000004444: 0C3A3A47
	v_and_b32_e32 v30, 2, v28                                  // 000000004448: 263C3882
	v_lshlrev_b32_e32 v30, 5, v30                              // 00000000444C: 243C3C85
	v_add_u32_e32 v29, v30, v29                                // 000000004450: 683A3B1E
	v_and_b32_e32 v28, 15, v0                                  // 000000004454: 2638008F
	v_lshlrev_b32_e32 v28, 2, v28                              // 000000004458: 24383882
	v_add_u32_e32 v212, v28, v29                               // 00000000445C: 69A83B1C
	s_mul_i32 s60, s46, s71                                    // 000000004460: 923C472E
	s_mul_i32 s60, s60, 4                                      // 000000004464: 923C843C
	v_add_u32_e32 v212, s60, v212                              // 000000004468: 69A9A83C
	v_add_u32_e32 v213, s71, v212                              // 00000000446C: 69ABA847
	v_lshrrev_b32_e32 v1, 2, v1                                // 000000004470: 20020282
	v_lshrrev_b32_e32 v2, 2, v2                                // 000000004474: 20040482
	v_lshrrev_b32_e32 v212, 2, v212                            // 000000004478: 21A9A882
	v_lshrrev_b32_e32 v213, 2, v213                            // 00000000447C: 21ABAA82
	s_mov_b32 s70, s52                                         // 000000004480: BEC60034
	v_lshrrev_b32_e32 v28, 3, v0                               // 000000004484: 20380083
	v_mul_i32_i24_e32 v3, s70, v28                             // 000000004488: 0C063846
	v_lshrrev_b32_e32 v3, 2, v3                                // 00000000448C: 20060682
	v_and_b32_e32 v28, 7, v0                                   // 000000004490: 26380087
	v_lshlrev_b32_e32 v29, 2, v28                              // 000000004494: 243A3882
	v_add_u32_e32 v3, v29, v3                                  // 000000004498: 6806071D
	s_mul_i32 s60, 16, s70                                     // 00000000449C: 923C4690
	s_mul_i32 s60, s46, s60                                    // 0000000044A0: 923C3C2E
	v_lshlrev_b32_e32 v3, 2, v3                                // 0000000044A4: 24060682
	v_add_u32_e32 v3, s60, v3                                  // 0000000044A8: 6806063C
	s_mul_i32 s60, 8, s70                                      // 0000000044AC: 923C4688
	v_add_u32_e32 v4, s60, v3                                  // 0000000044B0: 6808063C
	s_mul_i32 s60, s52, s59                                    // 0000000044B4: 923C3B34
	v_add_u32_e32 v3, s60, v3                                  // 0000000044B8: 6806063C
	v_lshrrev_b32_e32 v3, 2, v3                                // 0000000044BC: 20060682
	v_add_u32_e32 v4, s60, v4                                  // 0000000044C0: 6808083C
	v_lshrrev_b32_e32 v4, 2, v4                                // 0000000044C4: 20080882
	s_mov_b32 s70, s53                                         // 0000000044C8: BEC60035
	v_lshrrev_b32_e32 v28, 3, v0                               // 0000000044CC: 20380083
	v_mul_i32_i24_e32 v5, s70, v28                             // 0000000044D0: 0C0A3846
	v_lshrrev_b32_e32 v5, 2, v5                                // 0000000044D4: 200A0A82
	v_and_b32_e32 v28, 7, v0                                   // 0000000044D8: 26380087
	v_lshlrev_b32_e32 v29, 2, v28                              // 0000000044DC: 243A3882
	v_add_u32_e32 v5, v29, v5                                  // 0000000044E0: 680A0B1D
	s_mul_i32 s60, 16, s70                                     // 0000000044E4: 923C4690
	s_mul_i32 s60, s46, s60                                    // 0000000044E8: 923C3C2E
	v_lshlrev_b32_e32 v5, 2, v5                                // 0000000044EC: 240A0A82
	v_add_u32_e32 v5, s60, v5                                  // 0000000044F0: 680A0A3C
	s_mul_i32 s60, 8, s70                                      // 0000000044F4: 923C4688
	v_add_u32_e32 v6, s60, v5                                  // 0000000044F8: 680C0A3C
	s_mul_i32 s60, s53, s59                                    // 0000000044FC: 923C3B35
	v_add_u32_e32 v5, s60, v5                                  // 000000004500: 680A0A3C
	v_lshrrev_b32_e32 v5, 2, v5                                // 000000004504: 200A0A82
	v_add_u32_e32 v6, s60, v6                                  // 000000004508: 680C0C3C
	v_lshrrev_b32_e32 v6, 2, v6                                // 00000000450C: 200C0C82
	s_cmp_ge_i32 s59, s49                                      // 000000004510: BF03313B
	s_cselect_b32 s59, s49, s59                                // 000000004514: 853B3B31
	s_add_u32 s73, 16, s59                                     // 000000004518: 80493B90
	s_mul_i32 s55, s5, s59                                     // 00000000451C: 92373B05
	s_sub_i32 s61, s49, s59                                    // 000000004520: 81BD3B31
	s_mul_i32 s62, s5, s61                                     // 000000004524: 923E3D05
	s_lshr_b32 s62, s62, 2                                     // 000000004528: 8F3E823E
	s_mov_b32 s10, s62                                         // 00000000452C: BE8A003E
	s_add_u32 s8, s55, s82                                     // 000000004530: 80085237
	s_addc_u32 s9, 0, s83                                      // 000000004534: 82095380
	s_mul_i32 s56, s51, s59                                    // 000000004538: 92383B33
	s_mul_i32 s62, s51, s61                                    // 00000000453C: 923E3D33
	s_lshr_b32 s62, s62, 2                                     // 000000004540: 8F3E823E
	s_mov_b32 s22, s62                                         // 000000004544: BE96003E
	s_add_u32 s20, s56, s88                                    // 000000004548: 80145838
	s_addc_u32 s21, 0, s89                                     // 00000000454C: 82155980
	s_mul_i32 s65, s59, 4                                      // 000000004550: 9241843B
	v_and_b32_e32 v9, 15, v0                                   // 000000004554: 2612008F
	v_lshlrev_b32_e32 v9, 2, v9                                // 000000004558: 24121282
	v_add_u32_e32 v9, s65, v9                                  // 00000000455C: 68121241
	v_lshrrev_b32_e32 v9, 2, v9                                // 000000004560: 20121282
	v_lshrrev_b32_e32 v28, 5, v0                               // 000000004564: 20380085
	v_mul_i32_i24_e64 v29, s98, 2                              // 000000004568: D106001D 00010462
	v_mul_i32_i24_e32 v7, v29, v28                             // 000000004570: 0C0E391D
	v_and_b32_e32 v28, 31, v0                                  // 000000004574: 2638009F
	v_add_u32_e32 v7, v28, v7                                  // 000000004578: 680E0F1C
	s_mul_i32 s60, 4, s98                                      // 00000000457C: 923C6284
	s_mul_i32 s60, s46, s60                                    // 000000004580: 923C3C2E
	v_add_u32_e32 v7, s60, v7                                  // 000000004584: 680E0E3C
	v_lshlrev_b32_e32 v7, 2, v7                                // 000000004588: 240E0E82
	v_mul_i32_i24_e32 v29, 2, v29                              // 00000000458C: 0C3A3A82
	v_add_u32_e32 v8, v29, v7                                  // 000000004590: 68100F1D
	s_mul_i32 s60, s98, s65                                    // 000000004594: 923C4162
	v_add_u32_e32 v7, s60, v7                                  // 000000004598: 680E0E3C
	v_add_u32_e32 v8, s60, v8                                  // 00000000459C: 6810103C
	s_mul_i32 s60, 64, s2                                      // 0000000045A0: 923C02C0
	s_sub_i32 s100, s50, s60                                   // 0000000045A4: 81E43C32
	v_and_b32_e32 v28, 31, v0                                  // 0000000045A8: 2638009F
	v_lshrrev_b32_e32 v28, 1, v28                              // 0000000045AC: 20383881
	v_and_b32_e32 v29, 1, v28                                  // 0000000045B0: 263A3881
	v_lshlrev_b32_e32 v29, 4, v29                              // 0000000045B4: 243A3A84
	v_and_b32_e32 v30, 2, v28                                  // 0000000045B8: 263C3882
	v_lshlrev_b32_e32 v30, 2, v30                              // 0000000045BC: 243C3C82
	v_add_u32_e32 v29, v30, v29                                // 0000000045C0: 683A3B1E
	v_and_b32_e32 v30, 12, v28                                 // 0000000045C4: 263C388C
	v_lshrrev_b32_e32 v30, 1, v30                              // 0000000045C8: 203C3C81
	v_add_u32_e32 v29, v30, v29                                // 0000000045CC: 683A3B1E
	v_lshrrev_b32_e32 v28, 5, v0                               // 0000000045D0: 20380085
	v_mul_i32_i24_e32 v30, 0x80, v28                           // 0000000045D4: 0C3C38FF 00000080
	v_add_u32_e32 v29, v30, v29                                // 0000000045DC: 683A3B1E
	v_and_b32_e32 v30, 1, v0                                   // 0000000045E0: 263C0081
	v_add_u32_e32 v11, v30, v29                                // 0000000045E4: 68163B1E
	s_mul_i32 s60, s46, 32                                     // 0000000045E8: 923CA02E
	v_add_u32_e32 v11, s60, v11                                // 0000000045EC: 6816163C
	v_lshlrev_b32_e32 v11, 2, v11                              // 0000000045F0: 24161682
	v_lshrrev_b32_e32 v28, 4, v0                               // 0000000045F4: 20380084
	v_and_b32_e32 v29, 1, v28                                  // 0000000045F8: 263A3881
	v_lshlrev_b32_e32 v29, 4, v29                              // 0000000045FC: 243A3A84
	v_and_b32_e32 v30, 2, v28                                  // 000000004600: 263C3882
	v_mul_i32_i24_e32 v30, 4, v30                              // 000000004604: 0C3C3C84
	v_add_u32_e32 v29, v30, v29                                // 000000004608: 683A3B1E
	v_and_b32_e32 v28, 15, v0                                  // 00000000460C: 2638008F
	v_lshrrev_b32_e32 v30, 2, v28                              // 000000004610: 203C3882
	v_lshlrev_b32_e32 v30, 5, v30                              // 000000004614: 243C3C85
	v_add_u32_e32 v29, v30, v29                                // 000000004618: 683A3B1E
	v_and_b32_e32 v28, 3, v0                                   // 00000000461C: 26380083
	v_and_b32_e32 v30, 1, v28                                  // 000000004620: 263C3881
	v_mul_i32_i24_e32 v30, 0x108, v30                          // 000000004624: 0C3C3CFF 00000108
	v_add_u32_e32 v29, v30, v29                                // 00000000462C: 683A3B1E
	v_and_b32_e32 v30, 2, v28                                  // 000000004630: 263C3882
	v_lshlrev_b32_e32 v30, 1, v30                              // 000000004634: 243C3C81
	v_add_u32_e32 v10, v30, v29                                // 000000004638: 68143B1E
	v_lshlrev_b32_e32 v10, 2, v10                              // 00000000463C: 24141482
	s_mul_i32 s60, s46, 0x1980                                 // 000000004640: 923CFF2E 00001980
	v_add_u32_e32 v22, s60, v10                                // 000000004648: 682C143C
	v_lshrrev_b32_e32 v28, 5, v0                               // 00000000464C: 20380085
	v_mul_i32_i24_e32 v13, 0x80, v28                           // 000000004650: 0C1A38FF 00000080
	v_and_b32_e32 v28, 31, v0                                  // 000000004658: 2638009F
	v_and_b32_e32 v29, 7, v28                                  // 00000000465C: 263A3887
	v_and_b32_e32 v30, 1, v29                                  // 000000004660: 263C3A81
	v_lshlrev_b32_e32 v30, 2, v30                              // 000000004664: 243C3C82
	v_add_u32_e32 v13, v30, v13                                // 000000004668: 681A1B1E
	v_and_b32_e32 v30, 2, v29                                  // 00000000466C: 263C3A82
	v_lshlrev_b32_e32 v30, 3, v30                              // 000000004670: 243C3C83
	v_add_u32_e32 v13, v30, v13                                // 000000004674: 681A1B1E
	v_and_b32_e32 v30, 4, v29                                  // 000000004678: 263C3A84
	v_lshlrev_b32_e32 v30, 1, v30                              // 00000000467C: 243C3C81
	v_add_u32_e32 v13, v30, v13                                // 000000004680: 681A1B1E
	v_lshrrev_b32_e32 v29, 3, v28                              // 000000004684: 203A3883
	v_and_b32_e32 v30, 1, v29                                  // 000000004688: 263C3A81
	v_lshlrev_b32_e32 v30, 1, v30                              // 00000000468C: 243C3C81
	v_add_u32_e32 v13, v30, v13                                // 000000004690: 681A1B1E
	v_and_b32_e32 v30, 2, v29                                  // 000000004694: 263C3A82
	v_lshrrev_b32_e32 v30, 1, v30                              // 000000004698: 203C3C81
	v_add_u32_e32 v13, v30, v13                                // 00000000469C: 681A1B1E
	s_mul_i32 s60, s46, 32                                     // 0000000046A0: 923CA02E
	v_add_u32_e32 v13, s60, v13                                // 0000000046A4: 681A1A3C
	v_lshlrev_b32_e32 v13, 2, v13                              // 0000000046A8: 241A1A82
	v_and_b32_e32 v28, 15, v0                                  // 0000000046AC: 2638008F
	v_and_b32_e32 v30, 1, v28                                  // 0000000046B0: 263C3881
	v_mul_i32_i24_e32 v12, 0x108, v30                          // 0000000046B4: 0C183CFF 00000108
	v_and_b32_e32 v30, 2, v28                                  // 0000000046BC: 263C3882
	v_lshlrev_b32_e32 v30, 1, v30                              // 0000000046C0: 243C3C81
	v_add_u32_e32 v12, v30, v12                                // 0000000046C4: 6818191E
	v_and_b32_e32 v30, 4, v28                                  // 0000000046C8: 263C3884
	v_lshlrev_b32_e32 v30, 2, v30                              // 0000000046CC: 243C3C82
	v_add_u32_e32 v12, v30, v12                                // 0000000046D0: 6818191E
	v_and_b32_e32 v30, 8, v28                                  // 0000000046D4: 263C3888
	v_add_u32_e32 v12, v30, v12                                // 0000000046D8: 6818191E
	v_lshrrev_b32_e32 v28, 4, v0                               // 0000000046DC: 20380084
	v_and_b32_e32 v30, 1, v28                                  // 0000000046E0: 263C3881
	v_lshlrev_b32_e32 v30, 5, v30                              // 0000000046E4: 243C3C85
	v_add_u32_e32 v12, v30, v12                                // 0000000046E8: 6818191E
	v_and_b32_e32 v29, 2, v28                                  // 0000000046EC: 263A3882
	v_mul_i32_i24_e32 v30, 32, v29                             // 0000000046F0: 0C3C3AA0
	v_add_u32_e32 v12, v30, v12                                // 0000000046F4: 6818191E
	v_lshlrev_b32_e32 v12, 2, v12                              // 0000000046F8: 24181882
	v_lshrrev_b32_e32 v28, 4, v0                               // 0000000046FC: 20380084
	v_mul_i32_i24_e32 v21, 4, v28                              // 000000004700: 0C2A3884
	v_and_b32_e32 v29, 3, v0                                   // 000000004704: 263A0083
	v_add_u32_e32 v21, v29, v21                                // 000000004708: 682A2B1D
	v_lshlrev_b32_e32 v21, 2, v21                              // 00000000470C: 242A2A82
	v_lshrrev_b32_e32 v28, 5, v0                               // 000000004710: 20380085
	v_mul_i32_i24_e32 v26, 0x104, v28                          // 000000004714: 0C3438FF 00000104
	v_and_b32_e32 v28, 31, v0                                  // 00000000471C: 2638009F
	v_and_b32_e32 v29, 7, v28                                  // 000000004720: 263A3887
	v_lshlrev_b32_e32 v30, 2, v29                              // 000000004724: 243C3A82
	v_add_u32_e32 v26, v30, v26                                // 000000004728: 6834351E
	v_lshrrev_b32_e32 v29, 3, v28                              // 00000000472C: 203A3883
	v_and_b32_e32 v30, 1, v29                                  // 000000004730: 263C3A81
	v_mul_i32_i24_e32 v30, 0x82, v30                           // 000000004734: 0C3C3CFF 00000082
	v_add_u32_e32 v26, v30, v26                                // 00000000473C: 6834351E
	v_and_b32_e32 v30, 2, v29                                  // 000000004740: 263C3A82
	v_lshrrev_b32_e32 v30, 1, v30                              // 000000004744: 203C3C81
	v_add_u32_e32 v26, v30, v26                                // 000000004748: 6834351E
	s_mul_i32 s60, s46, 32                                     // 00000000474C: 923CA02E
	v_add_u32_e32 v26, s60, v26                                // 000000004750: 6834343C
	v_lshlrev_b32_e32 v26, 2, v26                              // 000000004754: 24343482
	v_lshrrev_b32_e32 v28, 5, v0                               // 000000004758: 20380085
	v_mul_i32_i24_e32 v23, 0x618, v28                          // 00000000475C: 0C2E38FF 00000618
	v_and_b32_e32 v28, 31, v0                                  // 000000004764: 2638009F
	v_lshlrev_b32_e32 v28, 1, v28                              // 000000004768: 24383881
	v_add_u32_e32 v23, v28, v23                                // 00000000476C: 682E2F1C
	s_mul_i32 s60, s46, 0x186                                  // 000000004770: 923CFF2E 00000186
	v_add_u32_e32 v23, s60, v23                                // 000000004778: 682E2E3C
	v_lshlrev_b32_e32 v23, 2, v23                              // 00000000477C: 242E2E82
	v_lshrrev_b32_e32 v28, 4, v0                               // 000000004780: 20380084
	v_and_b32_e32 v29, 1, v28                                  // 000000004784: 263A3881
	v_mul_i32_i24_e32 v19, 0x100, v29                          // 000000004788: 0C263AFF 00000100
	v_and_b32_e32 v29, 2, v28                                  // 000000004790: 263A3882
	v_mul_i32_i24_e32 v29, 64, v29                             // 000000004794: 0C3A3AC0
	v_add_u32_e32 v19, v29, v19                                // 000000004798: 6826271D
	v_and_b32_e32 v28, 15, v0                                  // 00000000479C: 2638008F
	v_mul_i32_i24_e32 v29, 2, v28                              // 0000000047A0: 0C3A3882
	v_add_u32_e32 v19, v29, v19                                // 0000000047A4: 6826271D
	s_mul_i32 s60, s46, 32                                     // 0000000047A8: 923CA02E
	v_add_u32_e32 v19, s60, v19                                // 0000000047AC: 6826263C
	v_lshlrev_b32_e32 v19, 2, v19                              // 0000000047B0: 24262682
	v_lshlrev_b32_e32 v20, 1, v0                               // 0000000047B4: 24280081
	s_mul_i32 s60, s46, 0x300                                  // 0000000047B8: 923CFF2E 00000300
	v_add_u32_e32 v20, s60, v20                                // 0000000047C0: 6828283C
	v_lshlrev_b32_e32 v20, 2, v20                              // 0000000047C4: 24282882
	v_lshrrev_b32_e32 v28, 5, v0                               // 0000000047C8: 20380085
	v_mul_i32_i24_e32 v17, 64, v28                             // 0000000047CC: 0C2238C0
	v_and_b32_e32 v28, 31, v0                                  // 0000000047D0: 2638009F
	v_and_b32_e32 v28, 3, v28                                  // 0000000047D4: 26383883
	v_and_b32_e32 v29, 1, v28                                  // 0000000047D8: 263A3881
	v_mul_i32_i24_e32 v29, 4, v29                              // 0000000047DC: 0C3A3A84
	v_add_u32_e32 v17, v29, v17                                // 0000000047E0: 6822231D
	v_and_b32_e32 v29, 2, v28                                  // 0000000047E4: 263A3882
	v_mul_i32_i24_e32 v29, 0x44, v29                           // 0000000047E8: 0C3A3AFF 00000044
	v_add_u32_e32 v17, v29, v17                                // 0000000047F0: 6822231D
	v_and_b32_e32 v28, 31, v0                                  // 0000000047F4: 2638009F
	v_lshrrev_b32_e32 v28, 2, v28                              // 0000000047F8: 20383882
	v_lshrrev_b32_e32 v30, 2, v28                              // 0000000047FC: 203C3882
	v_mul_i32_i24_e32 v29, 16, v30                             // 000000004800: 0C3A3C90
	v_add_u32_e32 v17, v29, v17                                // 000000004804: 6822231D
	v_and_b32_e32 v29, 2, v28                                  // 000000004808: 263A3882
	v_lshlrev_b32_e32 v29, 4, v29                              // 00000000480C: 243A3A84
	v_add_u32_e32 v17, v29, v17                                // 000000004810: 6822231D
	v_and_b32_e32 v29, 1, v28                                  // 000000004814: 263A3881
	v_xor_b32_e32 v29, v30, v29                                // 000000004818: 2A3A3B1E
	v_mul_i32_i24_e32 v29, 8, v29                              // 00000000481C: 0C3A3A88
	v_add_u32_e32 v17, v29, v17                                // 000000004820: 6822231D
	v_lshlrev_b32_e32 v17, 2, v17                              // 000000004824: 24222282
	v_lshrrev_b32_e32 v28, 5, v0                               // 000000004828: 20380085
	v_mul_i32_i24_e32 v18, 32, v28                             // 00000000482C: 0C2438A0
	v_and_b32_e32 v28, 31, v0                                  // 000000004830: 2638009F
	v_and_b32_e32 v28, 3, v28                                  // 000000004834: 26383883
	v_and_b32_e32 v29, 1, v28                                  // 000000004838: 263A3881
	v_mul_i32_i24_e32 v29, 4, v29                              // 00000000483C: 0C3A3A84
	v_add_u32_e32 v18, v29, v18                                // 000000004840: 6824251D
	v_and_b32_e32 v29, 2, v28                                  // 000000004844: 263A3882
	v_lshrrev_b32_e32 v29, 1, v29                              // 000000004848: 203A3A81
	v_add_u32_e32 v18, v29, v18                                // 00000000484C: 6824251D
	v_and_b32_e32 v28, 31, v0                                  // 000000004850: 2638009F
	v_lshrrev_b32_e32 v28, 2, v28                              // 000000004854: 20383882
	v_and_b32_e32 v30, 1, v28                                  // 000000004858: 263C3881
	v_mul_i32_i24_e32 v29, 16, v30                             // 00000000485C: 0C3A3C90
	v_add_u32_e32 v18, v29, v18                                // 000000004860: 6824251D
	v_and_b32_e32 v29, 2, v28                                  // 000000004864: 263A3882
	v_add_u32_e32 v18, v29, v18                                // 000000004868: 6824251D
	v_lshrrev_b32_e32 v29, 2, v28                              // 00000000486C: 203A3882
	v_xor_b32_e32 v29, v30, v29                                // 000000004870: 2A3A3B1E
	v_mul_i32_i24_e32 v29, 8, v29                              // 000000004874: 0C3A3A88
	v_add_u32_e32 v18, v29, v18                                // 000000004878: 6824251D
	s_and_b32 s60, 1, s46                                      // 00000000487C: 863C2E81
	s_mul_i32 s60, s60, 64                                     // 000000004880: 923CC03C
	s_lshr_b32 s61, s46, 1                                     // 000000004884: 8F3D812E
	s_mul_i32 s61, s61, 0x120                                  // 000000004888: 923DFF3D 00000120
	s_add_u32 s60, s60, s61                                    // 000000004890: 803C3D3C
	v_add_u32_e32 v18, s60, v18                                // 000000004894: 6824243C
	v_lshlrev_b32_e32 v18, 2, v18                              // 000000004898: 24242482
	buffer_load_dword v160, v1, s[12:15], 0 idxen              // 00000000489C: E0502000 8003A001
	buffer_load_dword v161, v2, s[12:15], 0 idxen              // 0000000048A4: E0502000 8003A102
	buffer_load_dword v162, v1, s[12:15], 0 idxen offset:128   // 0000000048AC: E0502080 8003A201
	buffer_load_dword v163, v2, s[12:15], 0 idxen offset:128   // 0000000048B4: E0502080 8003A302
	v_mov_b32_e32 v164, 0                                      // 0000000048BC: 7F480280
	s_mov_b64 exec, s[90:91]                                   // 0000000048C0: BEFE015A
	buffer_load_dword v164, v1, s[12:15], 0 idxen offset:256   // 0000000048C4: E0502100 8003A401
	s_mov_b32 exec_lo, -1                                      // 0000000048CC: BEFE00C1
	s_mov_b32 exec_hi, -1                                      // 0000000048D0: BEFF00C1
	v_mov_b32_e32 v165, 0                                      // 0000000048D4: 7F4A0280
	s_mov_b64 exec, s[90:91]                                   // 0000000048D8: BEFE015A
	buffer_load_dword v165, v2, s[12:15], 0 idxen offset:256   // 0000000048DC: E0502100 8003A502
	s_mov_b32 exec_lo, -1                                      // 0000000048E4: BEFE00C1
	s_mov_b32 exec_hi, -1                                      // 0000000048E8: BEFF00C1
	s_mul_i32 s60, 4, s6                                       // 0000000048EC: 923C0684
	v_add_u32_e32 v1, s60, v1                                  // 0000000048F0: 6802023C
	v_add_u32_e32 v2, s60, v2                                  // 0000000048F4: 6804043C
	buffer_load_dword v166, v1, s[12:15], 0 idxen              // 0000000048F8: E0502000 8003A601
	buffer_load_dword v167, v2, s[12:15], 0 idxen              // 000000004900: E0502000 8003A702
	buffer_load_dword v168, v1, s[12:15], 0 idxen offset:128   // 000000004908: E0502080 8003A801
	buffer_load_dword v169, v2, s[12:15], 0 idxen offset:128   // 000000004910: E0502080 8003A902
	v_mov_b32_e32 v170, 0                                      // 000000004918: 7F540280
	s_mov_b64 exec, s[90:91]                                   // 00000000491C: BEFE015A
	buffer_load_dword v170, v1, s[12:15], 0 idxen offset:256   // 000000004920: E0502100 8003AA01
	s_mov_b32 exec_lo, -1                                      // 000000004928: BEFE00C1
	s_mov_b32 exec_hi, -1                                      // 00000000492C: BEFF00C1
	v_mov_b32_e32 v171, 0                                      // 000000004930: 7F560280
	s_mov_b64 exec, s[90:91]                                   // 000000004934: BEFE015A
	buffer_load_dword v171, v2, s[12:15], 0 idxen offset:256   // 000000004938: E0502100 8003AB02
	s_mov_b32 exec_lo, -1                                      // 000000004940: BEFE00C1
	s_mov_b32 exec_hi, -1                                      // 000000004944: BEFF00C1
	s_mul_i32 s60, 4, s6                                       // 000000004948: 923C0684
	v_add_u32_e32 v1, s60, v1                                  // 00000000494C: 6802023C
	v_add_u32_e32 v2, s60, v2                                  // 000000004950: 6804043C
	buffer_load_dword v172, v1, s[12:15], 0 idxen              // 000000004954: E0502000 8003AC01
	buffer_load_dword v173, v2, s[12:15], 0 idxen              // 00000000495C: E0502000 8003AD02
	buffer_load_dword v174, v1, s[12:15], 0 idxen offset:128   // 000000004964: E0502080 8003AE01
	buffer_load_dword v175, v2, s[12:15], 0 idxen offset:128   // 00000000496C: E0502080 8003AF02
	v_mov_b32_e32 v176, 0                                      // 000000004974: 7F600280
	s_mov_b64 exec, s[90:91]                                   // 000000004978: BEFE015A
	buffer_load_dword v176, v1, s[12:15], 0 idxen offset:256   // 00000000497C: E0502100 8003B001
	s_mov_b32 exec_lo, -1                                      // 000000004984: BEFE00C1
	s_mov_b32 exec_hi, -1                                      // 000000004988: BEFF00C1
	v_mov_b32_e32 v177, 0                                      // 00000000498C: 7F620280
	s_mov_b64 exec, s[90:91]                                   // 000000004990: BEFE015A
	buffer_load_dword v177, v2, s[12:15], 0 idxen offset:256   // 000000004994: E0502100 8003B102
	s_mov_b32 exec_lo, -1                                      // 00000000499C: BEFE00C1
	s_mov_b32 exec_hi, -1                                      // 0000000049A0: BEFF00C1
	s_mul_i32 s60, 4, s6                                       // 0000000049A4: 923C0684
	v_add_u32_e32 v1, s60, v1                                  // 0000000049A8: 6802023C
	v_add_u32_e32 v2, s60, v2                                  // 0000000049AC: 6804043C
	buffer_load_dword v178, v1, s[12:15], 0 idxen              // 0000000049B0: E0502000 8003B201
	buffer_load_dword v179, v2, s[12:15], 0 idxen              // 0000000049B8: E0502000 8003B302
	buffer_load_dword v180, v1, s[12:15], 0 idxen offset:128   // 0000000049C0: E0502080 8003B401
	buffer_load_dword v181, v2, s[12:15], 0 idxen offset:128   // 0000000049C8: E0502080 8003B502
	v_mov_b32_e32 v182, 0                                      // 0000000049D0: 7F6C0280
	s_mov_b64 exec, s[90:91]                                   // 0000000049D4: BEFE015A
	buffer_load_dword v182, v1, s[12:15], 0 idxen offset:256   // 0000000049D8: E0502100 8003B601
	s_mov_b32 exec_lo, -1                                      // 0000000049E0: BEFE00C1
	s_mov_b32 exec_hi, -1                                      // 0000000049E4: BEFF00C1
	v_mov_b32_e32 v183, 0                                      // 0000000049E8: 7F6E0280
	s_mov_b64 exec, s[90:91]                                   // 0000000049EC: BEFE015A
	buffer_load_dword v183, v2, s[12:15], 0 idxen offset:256   // 0000000049F0: E0502100 8003B702
	s_mov_b32 exec_lo, -1                                      // 0000000049F8: BEFE00C1
	s_mov_b32 exec_hi, -1                                      // 0000000049FC: BEFF00C1
	s_mul_i32 s60, 4, s6                                       // 000000004A00: 923C0684
	v_add_u32_e32 v1, s60, v1                                  // 000000004A04: 6802023C
	v_add_u32_e32 v2, s60, v2                                  // 000000004A08: 6804043C
	s_waitcnt vmcnt(0) lgkmcnt(0)                              // 000000004A0C: BF8C0070
	s_barrier                                                  // 000000004A10: BF8A0000
	v_perm_b32 v184, v161, v160, s63                           // 000000004A14: D1ED00B8 00FF41A1
	v_perm_b32 v185, v161, v160, s64                           // 000000004A1C: D1ED00B9 010341A1
	v_perm_b32 v186, v163, v162, s63                           // 000000004A24: D1ED00BA 00FF45A3
	v_perm_b32 v187, v163, v162, s64                           // 000000004A2C: D1ED00BB 010345A3
	v_perm_b32 v188, v165, v164, s63                           // 000000004A34: D1ED00BC 00FF49A5
	v_perm_b32 v189, v165, v164, s64                           // 000000004A3C: D1ED00BD 010349A5
	v_perm_b32 v190, v167, v166, s63                           // 000000004A44: D1ED00BE 00FF4DA7
	v_perm_b32 v191, v167, v166, s64                           // 000000004A4C: D1ED00BF 01034DA7
	v_perm_b32 v192, v169, v168, s63                           // 000000004A54: D1ED00C0 00FF51A9
	v_perm_b32 v193, v169, v168, s64                           // 000000004A5C: D1ED00C1 010351A9
	v_perm_b32 v194, v171, v170, s63                           // 000000004A64: D1ED00C2 00FF55AB
	v_perm_b32 v195, v171, v170, s64                           // 000000004A6C: D1ED00C3 010355AB
	v_perm_b32 v196, v173, v172, s63                           // 000000004A74: D1ED00C4 00FF59AD
	v_perm_b32 v197, v173, v172, s64                           // 000000004A7C: D1ED00C5 010359AD
	v_perm_b32 v198, v175, v174, s63                           // 000000004A84: D1ED00C6 00FF5DAF
	v_perm_b32 v199, v175, v174, s64                           // 000000004A8C: D1ED00C7 01035DAF
	v_perm_b32 v200, v177, v176, s63                           // 000000004A94: D1ED00C8 00FF61B1
	v_perm_b32 v201, v177, v176, s64                           // 000000004A9C: D1ED00C9 010361B1
	v_perm_b32 v202, v179, v178, s63                           // 000000004AA4: D1ED00CA 00FF65B3
	v_perm_b32 v203, v179, v178, s64                           // 000000004AAC: D1ED00CB 010365B3
	v_perm_b32 v204, v181, v180, s63                           // 000000004AB4: D1ED00CC 00FF69B5
	v_perm_b32 v205, v181, v180, s64                           // 000000004ABC: D1ED00CD 010369B5
	v_perm_b32 v206, v183, v182, s63                           // 000000004AC4: D1ED00CE 00FF6DB7
	v_perm_b32 v207, v183, v182, s64                           // 000000004ACC: D1ED00CF 01036DB7
	ds_write_b32 v26, v184 offset:26112                        // 000000004AD4: D81A6600 0000B81A
	ds_write_b32 v26, v185 offset:26120                        // 000000004ADC: D81A6608 0000B91A
	ds_write_b32 v26, v186 offset:28192                        // 000000004AE4: D81A6E20 0000BA1A
	ds_write_b32 v26, v187 offset:28200                        // 000000004AEC: D81A6E28 0000BB1A
	ds_write_b32 v26, v188 offset:30272                        // 000000004AF4: D81A7640 0000BC1A
	ds_write_b32 v26, v189 offset:30280                        // 000000004AFC: D81A7648 0000BD1A
	ds_write_b32 v26, v190 offset:32352                        // 000000004B04: D81A7E60 0000BE1A
	ds_write_b32 v26, v191 offset:32360                        // 000000004B0C: D81A7E68 0000BF1A
	ds_write_b32 v26, v192 offset:34432                        // 000000004B14: D81A8680 0000C01A
	ds_write_b32 v26, v193 offset:34440                        // 000000004B1C: D81A8688 0000C11A
	ds_write_b32 v26, v194 offset:36512                        // 000000004B24: D81A8EA0 0000C21A
	ds_write_b32 v26, v195 offset:36520                        // 000000004B2C: D81A8EA8 0000C31A
	ds_write_b32 v26, v196 offset:38592                        // 000000004B34: D81A96C0 0000C41A
	ds_write_b32 v26, v197 offset:38600                        // 000000004B3C: D81A96C8 0000C51A
	ds_write_b32 v26, v198 offset:40672                        // 000000004B44: D81A9EE0 0000C61A
	ds_write_b32 v26, v199 offset:40680                        // 000000004B4C: D81A9EE8 0000C71A
	ds_write_b32 v26, v200 offset:42752                        // 000000004B54: D81AA700 0000C81A
	ds_write_b32 v26, v201 offset:42760                        // 000000004B5C: D81AA708 0000C91A
	ds_write_b32 v26, v202 offset:44832                        // 000000004B64: D81AAF20 0000CA1A
	ds_write_b32 v26, v203 offset:44840                        // 000000004B6C: D81AAF28 0000CB1A
	ds_write_b32 v26, v204 offset:46912                        // 000000004B74: D81AB740 0000CC1A
	ds_write_b32 v26, v205 offset:46920                        // 000000004B7C: D81AB748 0000CD1A
	ds_write_b32 v26, v206 offset:48992                        // 000000004B84: D81ABF60 0000CE1A
	ds_write_b32 v26, v207 offset:49000                        // 000000004B8C: D81ABF68 0000CF1A
	ds_write_b32 v11, v160                                     // 000000004B94: D81A0000 0000A00B
	ds_write_b32 v11, v161 offset:1056                         // 000000004B9C: D81A0420 0000A10B
	ds_write_b32 v11, v162 offset:2176                         // 000000004BA4: D81A0880 0000A20B
	ds_write_b32 v11, v163 offset:3232                         // 000000004BAC: D81A0CA0 0000A30B
	ds_write_b32 v11, v164 offset:4352                         // 000000004BB4: D81A1100 0000A40B
	ds_write_b32 v11, v165 offset:5408                         // 000000004BBC: D81A1520 0000A50B
	ds_write_b32 v11, v166 offset:6528                         // 000000004BC4: D81A1980 0000A60B
	ds_write_b32 v11, v167 offset:7584                         // 000000004BCC: D81A1DA0 0000A70B
	ds_write_b32 v11, v168 offset:8704                         // 000000004BD4: D81A2200 0000A80B
	ds_write_b32 v11, v169 offset:9760                         // 000000004BDC: D81A2620 0000A90B
	ds_write_b32 v11, v170 offset:10880                        // 000000004BE4: D81A2A80 0000AA0B
	ds_write_b32 v11, v171 offset:11936                        // 000000004BEC: D81A2EA0 0000AB0B
	ds_write_b32 v11, v172 offset:13056                        // 000000004BF4: D81A3300 0000AC0B
	ds_write_b32 v11, v173 offset:14112                        // 000000004BFC: D81A3720 0000AD0B
	ds_write_b32 v11, v174 offset:15232                        // 000000004C04: D81A3B80 0000AE0B
	ds_write_b32 v11, v175 offset:16288                        // 000000004C0C: D81A3FA0 0000AF0B
	ds_write_b32 v11, v176 offset:17408                        // 000000004C14: D81A4400 0000B00B
	ds_write_b32 v11, v177 offset:18464                        // 000000004C1C: D81A4820 0000B10B
	ds_write_b32 v11, v178 offset:19584                        // 000000004C24: D81A4C80 0000B20B
	ds_write_b32 v11, v179 offset:20640                        // 000000004C2C: D81A50A0 0000B30B
	ds_write_b32 v11, v180 offset:21760                        // 000000004C34: D81A5500 0000B40B
	ds_write_b32 v11, v181 offset:22816                        // 000000004C3C: D81A5920 0000B50B
	ds_write_b32 v11, v182 offset:23936                        // 000000004C44: D81A5D80 0000B60B
	ds_write_b32 v11, v183 offset:24992                        // 000000004C4C: D81A61A0 0000B70B
	s_waitcnt lgkmcnt(0)                                       // 000000004C54: BF8CC07F
	s_barrier                                                  // 000000004C58: BF8A0000
	buffer_load_dword v160, v212, s[16:19], 0 idxen            // 000000004C5C: E0502000 8004A0D4
	buffer_load_dword v161, v213, s[16:19], 0 idxen            // 000000004C64: E0502000 8004A1D5
	buffer_load_dword v162, v212, s[16:19], 0 idxen offset:128 // 000000004C6C: E0502080 8004A2D4
	buffer_load_dword v163, v213, s[16:19], 0 idxen offset:128 // 000000004C74: E0502080 8004A3D5
	v_mov_b32_e32 v164, 0                                      // 000000004C7C: 7F480280
	s_mov_b64 exec, s[90:91]                                   // 000000004C80: BEFE015A
	buffer_load_dword v164, v212, s[16:19], 0 idxen offset:256 // 000000004C84: E0502100 8004A4D4
	s_mov_b32 exec_lo, -1                                      // 000000004C8C: BEFE00C1
	s_mov_b32 exec_hi, -1                                      // 000000004C90: BEFF00C1
	v_mov_b32_e32 v165, 0                                      // 000000004C94: 7F4A0280
	s_mov_b64 exec, s[90:91]                                   // 000000004C98: BEFE015A
	buffer_load_dword v165, v213, s[16:19], 0 idxen offset:256 // 000000004C9C: E0502100 8004A5D5
	s_mov_b32 exec_lo, -1                                      // 000000004CA4: BEFE00C1
	s_mov_b32 exec_hi, -1                                      // 000000004CA8: BEFF00C1
	s_mul_i32 s60, 4, s7                                       // 000000004CAC: 923C0784
	v_add_u32_e32 v212, s60, v212                              // 000000004CB0: 69A9A83C
	v_add_u32_e32 v213, s60, v213                              // 000000004CB4: 69ABAA3C
	buffer_load_dword v166, v212, s[16:19], 0 idxen            // 000000004CB8: E0502000 8004A6D4
	buffer_load_dword v167, v213, s[16:19], 0 idxen            // 000000004CC0: E0502000 8004A7D5
	buffer_load_dword v168, v212, s[16:19], 0 idxen offset:128 // 000000004CC8: E0502080 8004A8D4
	buffer_load_dword v169, v213, s[16:19], 0 idxen offset:128 // 000000004CD0: E0502080 8004A9D5
	v_mov_b32_e32 v170, 0                                      // 000000004CD8: 7F540280
	s_mov_b64 exec, s[90:91]                                   // 000000004CDC: BEFE015A
	buffer_load_dword v170, v212, s[16:19], 0 idxen offset:256 // 000000004CE0: E0502100 8004AAD4
	s_mov_b32 exec_lo, -1                                      // 000000004CE8: BEFE00C1
	s_mov_b32 exec_hi, -1                                      // 000000004CEC: BEFF00C1
	v_mov_b32_e32 v171, 0                                      // 000000004CF0: 7F560280
	s_mov_b64 exec, s[90:91]                                   // 000000004CF4: BEFE015A
	buffer_load_dword v171, v213, s[16:19], 0 idxen offset:256 // 000000004CF8: E0502100 8004ABD5
	s_mov_b32 exec_lo, -1                                      // 000000004D00: BEFE00C1
	s_mov_b32 exec_hi, -1                                      // 000000004D04: BEFF00C1
	s_mul_i32 s60, 4, s7                                       // 000000004D08: 923C0784
	v_add_u32_e32 v212, s60, v212                              // 000000004D0C: 69A9A83C
	v_add_u32_e32 v213, s60, v213                              // 000000004D10: 69ABAA3C
	buffer_load_dword v172, v212, s[16:19], 0 idxen            // 000000004D14: E0502000 8004ACD4
	buffer_load_dword v173, v213, s[16:19], 0 idxen            // 000000004D1C: E0502000 8004ADD5
	buffer_load_dword v174, v212, s[16:19], 0 idxen offset:128 // 000000004D24: E0502080 8004AED4
	buffer_load_dword v175, v213, s[16:19], 0 idxen offset:128 // 000000004D2C: E0502080 8004AFD5
	v_mov_b32_e32 v176, 0                                      // 000000004D34: 7F600280
	s_mov_b64 exec, s[90:91]                                   // 000000004D38: BEFE015A
	buffer_load_dword v176, v212, s[16:19], 0 idxen offset:256 // 000000004D3C: E0502100 8004B0D4
	s_mov_b32 exec_lo, -1                                      // 000000004D44: BEFE00C1
	s_mov_b32 exec_hi, -1                                      // 000000004D48: BEFF00C1
	v_mov_b32_e32 v177, 0                                      // 000000004D4C: 7F620280
	s_mov_b64 exec, s[90:91]                                   // 000000004D50: BEFE015A
	buffer_load_dword v177, v213, s[16:19], 0 idxen offset:256 // 000000004D54: E0502100 8004B1D5
	s_mov_b32 exec_lo, -1                                      // 000000004D5C: BEFE00C1
	s_mov_b32 exec_hi, -1                                      // 000000004D60: BEFF00C1
	s_mul_i32 s60, 4, s7                                       // 000000004D64: 923C0784
	v_add_u32_e32 v212, s60, v212                              // 000000004D68: 69A9A83C
	v_add_u32_e32 v213, s60, v213                              // 000000004D6C: 69ABAA3C
	buffer_load_dword v178, v212, s[16:19], 0 idxen            // 000000004D70: E0502000 8004B2D4
	buffer_load_dword v179, v213, s[16:19], 0 idxen            // 000000004D78: E0502000 8004B3D5
	buffer_load_dword v180, v212, s[16:19], 0 idxen offset:128 // 000000004D80: E0502080 8004B4D4
	buffer_load_dword v181, v213, s[16:19], 0 idxen offset:128 // 000000004D88: E0502080 8004B5D5
	v_mov_b32_e32 v182, 0                                      // 000000004D90: 7F6C0280
	s_mov_b64 exec, s[90:91]                                   // 000000004D94: BEFE015A
	buffer_load_dword v182, v212, s[16:19], 0 idxen offset:256 // 000000004D98: E0502100 8004B6D4
	s_mov_b32 exec_lo, -1                                      // 000000004DA0: BEFE00C1
	s_mov_b32 exec_hi, -1                                      // 000000004DA4: BEFF00C1
	v_mov_b32_e32 v183, 0                                      // 000000004DA8: 7F6E0280
	s_mov_b64 exec, s[90:91]                                   // 000000004DAC: BEFE015A
	buffer_load_dword v183, v213, s[16:19], 0 idxen offset:256 // 000000004DB0: E0502100 8004B7D5
	s_mov_b32 exec_lo, -1                                      // 000000004DB8: BEFE00C1
	s_mov_b32 exec_hi, -1                                      // 000000004DBC: BEFF00C1
	s_mul_i32 s60, 4, s7                                       // 000000004DC0: 923C0784
	v_add_u32_e32 v212, s60, v212                              // 000000004DC4: 69A9A83C
	v_add_u32_e32 v213, s60, v213                              // 000000004DC8: 69ABAA3C
	ds_read_b64 a[24:25], v23 offset:26112                     // 000000004DCC: DAEC6600 18000017
	ds_read_b64 a[26:27], v23 offset:26632                     // 000000004DD4: DAEC6808 1A000017
	ds_read_b64 a[28:29], v23 offset:27152                     // 000000004DDC: DAEC6A10 1C000017
	ds_read_b64 a[30:31], v23 offset:26368                     // 000000004DE4: DAEC6700 1E000017
	ds_read_b64 a[32:33], v23 offset:26888                     // 000000004DEC: DAEC6908 20000017
	ds_read_b64 a[34:35], v23 offset:27408                     // 000000004DF4: DAEC6B10 22000017
	ds_read_b64 a[36:37], v23 offset:38592                     // 000000004DFC: DAEC96C0 24000017
	ds_read_b64 a[38:39], v23 offset:39112                     // 000000004E04: DAEC98C8 26000017
	ds_read_b64 a[40:41], v23 offset:39632                     // 000000004E0C: DAEC9AD0 28000017
	ds_read_b64 a[42:43], v23 offset:38848                     // 000000004E14: DAEC97C0 2A000017
	ds_read_b64 a[44:45], v23 offset:39368                     // 000000004E1C: DAEC99C8 2C000017
	ds_read_b64 a[46:47], v23 offset:39888                     // 000000004E24: DAEC9BD0 2E000017
	ds_read_b128 a[0:3], v22                                   // 000000004E2C: DBFE0000 00000016
	ds_read_b128 a[4:7], v22 offset:512                        // 000000004E34: DBFE0200 04000016
	ds_read_b128 a[8:11], v22 offset:2176                      // 000000004E3C: DBFE0880 08000016
	ds_read_b128 a[12:15], v22 offset:2688                     // 000000004E44: DBFE0A80 0C000016
	ds_read_b128 a[16:19], v22 offset:4352                     // 000000004E4C: DBFE1100 10000016
	ds_read_b128 a[20:23], v22 offset:4864                     // 000000004E54: DBFE1300 14000016
	s_waitcnt vmcnt(0) lgkmcnt(0)                              // 000000004E5C: BF8C0070
	s_barrier                                                  // 000000004E60: BF8A0000
	ds_write_b32 v11, v160                                     // 000000004E64: D81A0000 0000A00B
	ds_write_b32 v11, v161 offset:1056                         // 000000004E6C: D81A0420 0000A10B
	ds_write_b32 v11, v162 offset:2176                         // 000000004E74: D81A0880 0000A20B
	ds_write_b32 v11, v163 offset:3232                         // 000000004E7C: D81A0CA0 0000A30B
	ds_write_b32 v11, v164 offset:4352                         // 000000004E84: D81A1100 0000A40B
	ds_write_b32 v11, v165 offset:5408                         // 000000004E8C: D81A1520 0000A50B
	ds_write_b32 v11, v166 offset:6528                         // 000000004E94: D81A1980 0000A60B
	ds_write_b32 v11, v167 offset:7584                         // 000000004E9C: D81A1DA0 0000A70B
	ds_write_b32 v11, v168 offset:8704                         // 000000004EA4: D81A2200 0000A80B
	ds_write_b32 v11, v169 offset:9760                         // 000000004EAC: D81A2620 0000A90B
	ds_write_b32 v11, v170 offset:10880                        // 000000004EB4: D81A2A80 0000AA0B
	ds_write_b32 v11, v171 offset:11936                        // 000000004EBC: D81A2EA0 0000AB0B
	ds_write_b32 v11, v172 offset:13056                        // 000000004EC4: D81A3300 0000AC0B
	ds_write_b32 v11, v173 offset:14112                        // 000000004ECC: D81A3720 0000AD0B
	ds_write_b32 v11, v174 offset:15232                        // 000000004ED4: D81A3B80 0000AE0B
	ds_write_b32 v11, v175 offset:16288                        // 000000004EDC: D81A3FA0 0000AF0B
	ds_write_b32 v11, v176 offset:17408                        // 000000004EE4: D81A4400 0000B00B
	ds_write_b32 v11, v177 offset:18464                        // 000000004EEC: D81A4820 0000B10B
	ds_write_b32 v11, v178 offset:19584                        // 000000004EF4: D81A4C80 0000B20B
	ds_write_b32 v11, v179 offset:20640                        // 000000004EFC: D81A50A0 0000B30B
	ds_write_b32 v11, v180 offset:21760                        // 000000004F04: D81A5500 0000B40B
	ds_write_b32 v11, v181 offset:22816                        // 000000004F0C: D81A5920 0000B50B
	ds_write_b32 v11, v182 offset:23936                        // 000000004F14: D81A5D80 0000B60B
	ds_write_b32 v11, v183 offset:24992                        // 000000004F1C: D81A61A0 0000B70B
	s_mov_b32 s71, s5                                          // 000000004F24: BEC70005
	v_lshrrev_b32_e32 v28, 4, v0                               // 000000004F28: 20380084
	v_and_b32_e32 v29, 1, v28                                  // 000000004F2C: 263A3881
	v_lshlrev_b32_e32 v29, 1, v29                              // 000000004F30: 243A3A81
	v_mul_i32_i24_e32 v29, s71, v29                            // 000000004F34: 0C3A3A47
	v_and_b32_e32 v30, 2, v28                                  // 000000004F38: 263C3882
	v_lshlrev_b32_e32 v30, 5, v30                              // 000000004F3C: 243C3C85
	v_add_u32_e32 v29, v30, v29                                // 000000004F40: 683A3B1E
	v_and_b32_e32 v28, 15, v0                                  // 000000004F44: 2638008F
	v_lshlrev_b32_e32 v28, 2, v28                              // 000000004F48: 24383882
	v_add_u32_e32 v1, v28, v29                                 // 000000004F4C: 68023B1C
	s_mul_i32 s60, s46, s71                                    // 000000004F50: 923C472E
	s_mul_i32 s60, s60, 4                                      // 000000004F54: 923C843C
	v_add_u32_e32 v1, s60, v1                                  // 000000004F58: 6802023C
	v_add_u32_e32 v2, s71, v1                                  // 000000004F5C: 68040247
	s_mov_b32 s71, s51                                         // 000000004F60: BEC70033
	v_lshrrev_b32_e32 v28, 4, v0                               // 000000004F64: 20380084
	v_and_b32_e32 v29, 1, v28                                  // 000000004F68: 263A3881
	v_lshlrev_b32_e32 v29, 1, v29                              // 000000004F6C: 243A3A81
	v_mul_i32_i24_e32 v29, s71, v29                            // 000000004F70: 0C3A3A47
	v_and_b32_e32 v30, 2, v28                                  // 000000004F74: 263C3882
	v_lshlrev_b32_e32 v30, 5, v30                              // 000000004F78: 243C3C85
	v_add_u32_e32 v29, v30, v29                                // 000000004F7C: 683A3B1E
	v_and_b32_e32 v28, 15, v0                                  // 000000004F80: 2638008F
	v_lshlrev_b32_e32 v28, 2, v28                              // 000000004F84: 24383882
	v_add_u32_e32 v212, v28, v29                               // 000000004F88: 69A83B1C
	s_mul_i32 s60, s46, s71                                    // 000000004F8C: 923C472E
	s_mul_i32 s60, s60, 4                                      // 000000004F90: 923C843C
	v_add_u32_e32 v212, s60, v212                              // 000000004F94: 69A9A83C
	v_add_u32_e32 v213, s71, v212                              // 000000004F98: 69ABA847
	v_lshrrev_b32_e32 v1, 2, v1                                // 000000004F9C: 20020282
	v_lshrrev_b32_e32 v2, 2, v2                                // 000000004FA0: 20040482
	v_lshrrev_b32_e32 v212, 2, v212                            // 000000004FA4: 21A9A882
	v_lshrrev_b32_e32 v213, 2, v213                            // 000000004FA8: 21ABAA82
	buffer_load_dword v32, v1, s[8:11], 0 idxen                // 000000004FAC: E0502000 80022001
	buffer_load_dword v33, v2, s[8:11], 0 idxen                // 000000004FB4: E0502000 80022102
	buffer_load_dword v34, v1, s[8:11], 0 idxen offset:128     // 000000004FBC: E0502080 80022201
	buffer_load_dword v35, v2, s[8:11], 0 idxen offset:128     // 000000004FC4: E0502080 80022302
	v_mov_b32_e32 v36, 0                                       // 000000004FCC: 7E480280
	s_mov_b64 exec, s[90:91]                                   // 000000004FD0: BEFE015A
	buffer_load_dword v36, v1, s[8:11], 0 idxen offset:256     // 000000004FD4: E0502100 80022401
	s_mov_b32 exec_lo, -1                                      // 000000004FDC: BEFE00C1
	s_mov_b32 exec_hi, -1                                      // 000000004FE0: BEFF00C1
	v_mov_b32_e32 v37, 0                                       // 000000004FE4: 7E4A0280
	s_mov_b64 exec, s[90:91]                                   // 000000004FE8: BEFE015A
	buffer_load_dword v37, v2, s[8:11], 0 idxen offset:256     // 000000004FEC: E0502100 80022502
	s_mov_b32 exec_lo, -1                                      // 000000004FF4: BEFE00C1
	s_mov_b32 exec_hi, -1                                      // 000000004FF8: BEFF00C1
	buffer_load_dword v44, v212, s[20:23], 0 idxen             // 000000004FFC: E0502000 80052CD4
	buffer_load_dword v45, v213, s[20:23], 0 idxen             // 000000005004: E0502000 80052DD5
	buffer_load_dword v46, v212, s[20:23], 0 idxen offset:128  // 00000000500C: E0502080 80052ED4
	buffer_load_dword v47, v213, s[20:23], 0 idxen offset:128  // 000000005014: E0502080 80052FD5
	v_mov_b32_e32 v48, 0                                       // 00000000501C: 7E600280
	s_mov_b64 exec, s[90:91]                                   // 000000005020: BEFE015A
	buffer_load_dword v48, v212, s[20:23], 0 idxen offset:256  // 000000005024: E0502100 800530D4
	s_mov_b32 exec_lo, -1                                      // 00000000502C: BEFE00C1
	s_mov_b32 exec_hi, -1                                      // 000000005030: BEFF00C1
	v_mov_b32_e32 v49, 0                                       // 000000005034: 7E620280
	s_mov_b64 exec, s[90:91]                                   // 000000005038: BEFE015A
	buffer_load_dword v49, v213, s[20:23], 0 idxen offset:256  // 00000000503C: E0502100 800531D5
	s_mov_b32 exec_lo, -1                                      // 000000005044: BEFE00C1
	s_mov_b32 exec_hi, -1                                      // 000000005048: BEFF00C1
	s_waitcnt lgkmcnt(0)                                       // 00000000504C: BF8CC07F
	s_barrier                                                  // 000000005050: BF8A0000
	ds_read_b128 a[48:51], v22                                 // 000000005054: DBFE0000 30000016
	ds_read_b128 a[52:55], v22 offset:512                      // 00000000505C: DBFE0200 34000016
	ds_read_b128 a[56:59], v22 offset:2176                     // 000000005064: DBFE0880 38000016
	ds_read_b128 a[60:63], v22 offset:2688                     // 00000000506C: DBFE0A80 3C000016
	ds_read_b128 a[64:67], v22 offset:4352                     // 000000005074: DBFE1100 40000016
	ds_read_b128 a[68:71], v22 offset:4864                     // 00000000507C: DBFE1300 44000016
	v_add_u32_e32 v1, s68, v1                                  // 000000005084: 68020244
	v_add_u32_e32 v2, s68, v2                                  // 000000005088: 68040444
	v_add_u32_e32 v212, s99, v212                              // 00000000508C: 69A9A863
	v_add_u32_e32 v213, s99, v213                              // 000000005090: 69ABAA63
	buffer_load_dword v38, v1, s[8:11], 0 idxen                // 000000005094: E0502000 80022601
	buffer_load_dword v39, v2, s[8:11], 0 idxen                // 00000000509C: E0502000 80022702
	buffer_load_dword v40, v1, s[8:11], 0 idxen offset:128     // 0000000050A4: E0502080 80022801
	buffer_load_dword v41, v2, s[8:11], 0 idxen offset:128     // 0000000050AC: E0502080 80022902
	v_mov_b32_e32 v42, 0                                       // 0000000050B4: 7E540280
	s_mov_b64 exec, s[90:91]                                   // 0000000050B8: BEFE015A
	buffer_load_dword v42, v1, s[8:11], 0 idxen offset:256     // 0000000050BC: E0502100 80022A01
	s_mov_b32 exec_lo, -1                                      // 0000000050C4: BEFE00C1
	s_mov_b32 exec_hi, -1                                      // 0000000050C8: BEFF00C1
	v_mov_b32_e32 v43, 0                                       // 0000000050CC: 7E560280
	s_mov_b64 exec, s[90:91]                                   // 0000000050D0: BEFE015A
	buffer_load_dword v43, v2, s[8:11], 0 idxen offset:256     // 0000000050D4: E0502100 80022B02
	s_mov_b32 exec_lo, -1                                      // 0000000050DC: BEFE00C1
	s_mov_b32 exec_hi, -1                                      // 0000000050E0: BEFF00C1
	buffer_load_dword v50, v212, s[20:23], 0 idxen             // 0000000050E4: E0502000 800532D4
	buffer_load_dword v51, v213, s[20:23], 0 idxen             // 0000000050EC: E0502000 800533D5
	buffer_load_dword v52, v212, s[20:23], 0 idxen offset:128  // 0000000050F4: E0502080 800534D4
	buffer_load_dword v53, v213, s[20:23], 0 idxen offset:128  // 0000000050FC: E0502080 800535D5
	v_mov_b32_e32 v54, 0                                       // 000000005104: 7E6C0280
	s_mov_b64 exec, s[90:91]                                   // 000000005108: BEFE015A
	buffer_load_dword v54, v212, s[20:23], 0 idxen offset:256  // 00000000510C: E0502100 800536D4
	s_mov_b32 exec_lo, -1                                      // 000000005114: BEFE00C1
	s_mov_b32 exec_hi, -1                                      // 000000005118: BEFF00C1
	v_mov_b32_e32 v55, 0                                       // 00000000511C: 7E6E0280
	s_mov_b64 exec, s[90:91]                                   // 000000005120: BEFE015A
	buffer_load_dword v55, v213, s[20:23], 0 idxen offset:256  // 000000005124: E0502100 800537D5
	s_mov_b32 exec_lo, -1                                      // 00000000512C: BEFE00C1
	s_mov_b32 exec_hi, -1                                      // 000000005130: BEFF00C1
	v_add_u32_e32 v1, s68, v1                                  // 000000005134: 68020244
	v_add_u32_e32 v2, s68, v2                                  // 000000005138: 68040444
	v_add_u32_e32 v212, s99, v212                              // 00000000513C: 69A9A863
	v_add_u32_e32 v213, s99, v213                              // 000000005140: 69ABAA63
	s_waitcnt vmcnt(12) lgkmcnt(0)                             // 000000005144: BF8C007C
	s_barrier                                                  // 000000005148: BF8A0000
	buffer_load_dword v9, s[24:27], 0 idxen lds                // 00000000514C: E0512000 80060009
	s_mov_b32 m0, s81                                          // 000000005154: BEFC0051
	v_add_u32_e32 v9, s69, v9                                  // 000000005158: 68121245
	v_perm_b32 v68, v33, v32, s63                              // 00000000515C: D1ED0044 00FE4121
	v_perm_b32 v69, v33, v32, s64                              // 000000005164: D1ED0045 01024121
	v_perm_b32 v70, v35, v34, s63                              // 00000000516C: D1ED0046 00FE4523
	v_perm_b32 v71, v35, v34, s64                              // 000000005174: D1ED0047 01024523
	v_perm_b32 v72, v37, v36, s63                              // 00000000517C: D1ED0048 00FE4925
	v_perm_b32 v73, v37, v36, s64                              // 000000005184: D1ED0049 01024925
	ds_write_b32 v13, v68 offset:6528                          // 00000000518C: D81A1980 0000440D
	ds_write_b32 v13, v69 offset:7584                          // 000000005194: D81A1DA0 0000450D
	ds_write_b32 v13, v70 offset:8704                          // 00000000519C: D81A2200 0000460D
	ds_write_b32 v13, v71 offset:9760                          // 0000000051A4: D81A2620 0000470D
	ds_write_b32 v13, v72 offset:10880                         // 0000000051AC: D81A2A80 0000480D
	ds_write_b32 v13, v73 offset:11936                         // 0000000051B4: D81A2EA0 0000490D
	ds_write_b32 v11, v32                                      // 0000000051BC: D81A0000 0000200B
	ds_write_b32 v11, v33 offset:1056                          // 0000000051C4: D81A0420 0000210B
	ds_write_b32 v11, v34 offset:2176                          // 0000000051CC: D81A0880 0000220B
	ds_write_b32 v11, v35 offset:3232                          // 0000000051D4: D81A0CA0 0000230B
	ds_write_b32 v11, v36 offset:4352                          // 0000000051DC: D81A1100 0000240B
	ds_write_b32 v11, v37 offset:5408                          // 0000000051E4: D81A1520 0000250B
	buffer_load_dword v9, s[24:27], 0 idxen lds                // 0000000051EC: E0512000 80060009
	s_mov_b32 m0, s80                                          // 0000000051F4: BEFC0050
	v_add_u32_e32 v9, s69, v9                                  // 0000000051F8: 68121245
	v_perm_b32 v74, v45, v44, s63                              // 0000000051FC: D1ED004A 00FE592D
	v_perm_b32 v75, v45, v44, s64                              // 000000005204: D1ED004B 0102592D
	v_perm_b32 v76, v47, v46, s63                              // 00000000520C: D1ED004C 00FE5D2F
	v_perm_b32 v77, v47, v46, s64                              // 000000005214: D1ED004D 01025D2F
	v_perm_b32 v78, v49, v48, s63                              // 00000000521C: D1ED004E 00FE6131
	v_perm_b32 v79, v49, v48, s64                              // 000000005224: D1ED004F 01026131
	ds_write_b32 v13, v74 offset:19584                         // 00000000522C: D81A4C80 00004A0D
	ds_write_b32 v13, v75 offset:20640                         // 000000005234: D81A50A0 00004B0D
	ds_write_b32 v13, v76 offset:21760                         // 00000000523C: D81A5500 00004C0D
	ds_write_b32 v13, v77 offset:22816                         // 000000005244: D81A5920 00004D0D
	ds_write_b32 v13, v78 offset:23936                         // 00000000524C: D81A5D80 00004E0D
	ds_write_b32 v13, v79 offset:24992                         // 000000005254: D81A61A0 00004F0D
	ds_write_b32 v11, v44 offset:13056                         // 00000000525C: D81A3300 00002C0B
	ds_write_b32 v11, v45 offset:14112                         // 000000005264: D81A3720 00002D0B
	ds_write_b32 v11, v46 offset:15232                         // 00000000526C: D81A3B80 00002E0B
	ds_write_b32 v11, v47 offset:16288                         // 000000005274: D81A3FA0 00002F0B
	ds_write_b32 v11, v48 offset:17408                         // 00000000527C: D81A4400 0000300B
	ds_write_b32 v11, v49 offset:18464                         // 000000005284: D81A4820 0000310B
	s_waitcnt vmcnt(1) lgkmcnt(0)                              // 00000000528C: BF8C0071
	s_barrier                                                  // 000000005290: BF8A0000
	ds_read_b128 a[72:75], v10                                 // 000000005294: DBFE0000 4800000A
	ds_read_b128 a[76:79], v10 offset:512                      // 00000000529C: DBFE0200 4C00000A
	ds_read_b128 a[80:83], v10 offset:2176                     // 0000000052A4: DBFE0880 5000000A
	ds_read_b128 a[84:87], v10 offset:2688                     // 0000000052AC: DBFE0A80 5400000A
	ds_read_b128 a[88:91], v10 offset:4352                     // 0000000052B4: DBFE1100 5800000A
	ds_read_b128 a[92:95], v10 offset:4864                     // 0000000052BC: DBFE1300 5C00000A
	ds_read_b128 v[80:83], v10 offset:13056                    // 0000000052C4: D9FE3300 5000000A
	ds_read_b128 v[84:87], v10 offset:13568                    // 0000000052CC: D9FE3500 5400000A
	ds_read_b128 v[88:91], v10 offset:15232                    // 0000000052D4: D9FE3B80 5800000A
	ds_read_b128 v[92:95], v10 offset:15744                    // 0000000052DC: D9FE3D80 5C00000A
	ds_read_b128 v[96:99], v10 offset:17408                    // 0000000052E4: D9FE4400 6000000A
	ds_read_b128 v[100:103], v10 offset:17920                  // 0000000052EC: D9FE4600 6400000A
	ds_read_b32 v128, v21 offset:40704                         // 0000000052F4: D86C9F00 80000015
	ds_read_b32 v158, v21 offset:40960                         // 0000000052FC: D86CA000 9E000015
	v_accvgpr_write_b32 a96, 0                                 // 000000005304: D3D94060 18000080
	v_mov_b32_e32 v160, 0                                      // 00000000530C: 7F400280
	v_accvgpr_write_b32 a97, 0                                 // 000000005310: D3D94061 18000080
	v_mov_b32_e32 v161, 0                                      // 000000005318: 7F420280
	v_accvgpr_write_b32 a98, 0                                 // 00000000531C: D3D94062 18000080
	v_mov_b32_e32 v162, 0                                      // 000000005324: 7F440280
	v_accvgpr_write_b32 a99, 0                                 // 000000005328: D3D94063 18000080
	v_mov_b32_e32 v163, 0                                      // 000000005330: 7F460280
	v_accvgpr_write_b32 a100, 0                                // 000000005334: D3D94064 18000080
	v_mov_b32_e32 v164, 0                                      // 00000000533C: 7F480280
	v_accvgpr_write_b32 a101, 0                                // 000000005340: D3D94065 18000080
	v_mov_b32_e32 v165, 0                                      // 000000005348: 7F4A0280
	v_accvgpr_write_b32 a102, 0                                // 00000000534C: D3D94066 18000080
	v_mov_b32_e32 v166, 0                                      // 000000005354: 7F4C0280
	v_accvgpr_write_b32 a103, 0                                // 000000005358: D3D94067 18000080
	v_mov_b32_e32 v167, 0                                      // 000000005360: 7F4E0280
	v_accvgpr_write_b32 a104, 0                                // 000000005364: D3D94068 18000080
	v_mov_b32_e32 v168, 0                                      // 00000000536C: 7F500280
	v_accvgpr_write_b32 a105, 0                                // 000000005370: D3D94069 18000080
	v_mov_b32_e32 v169, 0                                      // 000000005378: 7F520280
	v_accvgpr_write_b32 a106, 0                                // 00000000537C: D3D9406A 18000080
	v_mov_b32_e32 v170, 0                                      // 000000005384: 7F540280
	v_accvgpr_write_b32 a107, 0                                // 000000005388: D3D9406B 18000080
	v_mov_b32_e32 v171, 0                                      // 000000005390: 7F560280
	v_accvgpr_write_b32 a108, 0                                // 000000005394: D3D9406C 18000080
	v_mov_b32_e32 v172, 0                                      // 00000000539C: 7F580280
	v_accvgpr_write_b32 a109, 0                                // 0000000053A0: D3D9406D 18000080
	v_mov_b32_e32 v173, 0                                      // 0000000053A8: 7F5A0280
	v_accvgpr_write_b32 a110, 0                                // 0000000053AC: D3D9406E 18000080
	v_mov_b32_e32 v174, 0                                      // 0000000053B4: 7F5C0280
	v_accvgpr_write_b32 a111, 0                                // 0000000053B8: D3D9406F 18000080
	v_mov_b32_e32 v175, 0                                      // 0000000053C0: 7F5E0280
	v_accvgpr_write_b32 a112, 0                                // 0000000053C4: D3D94070 18000080
	v_mov_b32_e32 v176, 0                                      // 0000000053CC: 7F600280
	v_accvgpr_write_b32 a113, 0                                // 0000000053D0: D3D94071 18000080
	v_mov_b32_e32 v177, 0                                      // 0000000053D8: 7F620280
	v_accvgpr_write_b32 a114, 0                                // 0000000053DC: D3D94072 18000080
	v_mov_b32_e32 v178, 0                                      // 0000000053E4: 7F640280
	v_accvgpr_write_b32 a115, 0                                // 0000000053E8: D3D94073 18000080
	v_mov_b32_e32 v179, 0                                      // 0000000053F0: 7F660280
	v_accvgpr_write_b32 a116, 0                                // 0000000053F4: D3D94074 18000080
	v_mov_b32_e32 v180, 0                                      // 0000000053FC: 7F680280
	v_accvgpr_write_b32 a117, 0                                // 000000005400: D3D94075 18000080
	v_mov_b32_e32 v181, 0                                      // 000000005408: 7F6A0280
	v_accvgpr_write_b32 a118, 0                                // 00000000540C: D3D94076 18000080
	v_mov_b32_e32 v182, 0                                      // 000000005414: 7F6C0280
	v_accvgpr_write_b32 a119, 0                                // 000000005418: D3D94077 18000080
	v_mov_b32_e32 v183, 0                                      // 000000005420: 7F6E0280
	v_accvgpr_write_b32 a120, 0                                // 000000005424: D3D94078 18000080
	v_mov_b32_e32 v184, 0                                      // 00000000542C: 7F700280
	v_accvgpr_write_b32 a121, 0                                // 000000005430: D3D94079 18000080
	v_mov_b32_e32 v185, 0                                      // 000000005438: 7F720280
	v_accvgpr_write_b32 a122, 0                                // 00000000543C: D3D9407A 18000080
	v_mov_b32_e32 v186, 0                                      // 000000005444: 7F740280
	v_accvgpr_write_b32 a123, 0                                // 000000005448: D3D9407B 18000080
	v_mov_b32_e32 v187, 0                                      // 000000005450: 7F760280
	v_accvgpr_write_b32 a124, 0                                // 000000005454: D3D9407C 18000080
	v_mov_b32_e32 v188, 0                                      // 00000000545C: 7F780280
	v_accvgpr_write_b32 a125, 0                                // 000000005460: D3D9407D 18000080
	v_mov_b32_e32 v189, 0                                      // 000000005468: 7F7A0280
	v_accvgpr_write_b32 a126, 0                                // 00000000546C: D3D9407E 18000080
	v_mov_b32_e32 v190, 0                                      // 000000005474: 7F7C0280
	v_accvgpr_write_b32 a127, 0                                // 000000005478: D3D9407F 18000080
	v_mov_b32_e32 v191, 0                                      // 000000005480: 7F7E0280
	v_accvgpr_write_b32 a128, 0                                // 000000005484: D3D94080 18000080
	v_mov_b32_e32 v192, 0                                      // 00000000548C: 7F800280
	v_accvgpr_write_b32 a129, 0                                // 000000005490: D3D94081 18000080
	v_mov_b32_e32 v193, 0                                      // 000000005498: 7F820280
	v_accvgpr_write_b32 a130, 0                                // 00000000549C: D3D94082 18000080
	v_mov_b32_e32 v194, 0                                      // 0000000054A4: 7F840280
	v_accvgpr_write_b32 a131, 0                                // 0000000054A8: D3D94083 18000080
	v_mov_b32_e32 v195, 0                                      // 0000000054B0: 7F860280
	v_accvgpr_write_b32 a132, 0                                // 0000000054B4: D3D94084 18000080
	v_mov_b32_e32 v196, 0                                      // 0000000054BC: 7F880280
	v_accvgpr_write_b32 a133, 0                                // 0000000054C0: D3D94085 18000080
	v_mov_b32_e32 v197, 0                                      // 0000000054C8: 7F8A0280
	v_accvgpr_write_b32 a134, 0                                // 0000000054CC: D3D94086 18000080
	v_mov_b32_e32 v198, 0                                      // 0000000054D4: 7F8C0280
	v_accvgpr_write_b32 a135, 0                                // 0000000054D8: D3D94087 18000080
	v_mov_b32_e32 v199, 0                                      // 0000000054E0: 7F8E0280
	v_accvgpr_write_b32 a136, 0                                // 0000000054E4: D3D94088 18000080
	v_mov_b32_e32 v200, 0                                      // 0000000054EC: 7F900280
	v_accvgpr_write_b32 a137, 0                                // 0000000054F0: D3D94089 18000080
	v_mov_b32_e32 v201, 0                                      // 0000000054F8: 7F920280
	v_accvgpr_write_b32 a138, 0                                // 0000000054FC: D3D9408A 18000080
	v_mov_b32_e32 v202, 0                                      // 000000005504: 7F940280
	v_accvgpr_write_b32 a139, 0                                // 000000005508: D3D9408B 18000080
	v_mov_b32_e32 v203, 0                                      // 000000005510: 7F960280
	v_accvgpr_write_b32 a140, 0                                // 000000005514: D3D9408C 18000080
	v_mov_b32_e32 v204, 0                                      // 00000000551C: 7F980280
	v_accvgpr_write_b32 a141, 0                                // 000000005520: D3D9408D 18000080
	v_mov_b32_e32 v205, 0                                      // 000000005528: 7F9A0280
	v_accvgpr_write_b32 a142, 0                                // 00000000552C: D3D9408E 18000080
	v_mov_b32_e32 v206, 0                                      // 000000005534: 7F9C0280
	v_accvgpr_write_b32 a143, 0                                // 000000005538: D3D9408F 18000080
	v_mov_b32_e32 v207, 0                                      // 000000005540: 7F9E0280
	v_mov_b32_e32 v144, 0                                      // 000000005544: 7F200280
	v_mov_b32_e32 v145, 0                                      // 000000005548: 7F220280
	v_mov_b32_e32 v146, 0                                      // 00000000554C: 7F240280
	v_mov_b32_e32 v147, 0                                      // 000000005550: 7F260280
	v_mov_b32_e32 v148, 0                                      // 000000005554: 7F280280
	v_mov_b32_e32 v149, 0                                      // 000000005558: 7F2A0280
	v_mov_b32_e32 v150, 0                                      // 00000000555C: 7F2C0280
	v_mov_b32_e32 v151, 0                                      // 000000005560: 7F2E0280
	v_mov_b32_e32 v152, 0                                      // 000000005564: 7F300280
	v_mov_b32_e32 v153, 0                                      // 000000005568: 7F320280
	v_mov_b32_e32 v154, 0                                      // 00000000556C: 7F340280
	v_mov_b32_e32 v155, 0                                      // 000000005570: 7F360280
	v_mov_b32_e32 v132, 0                                      // 000000005574: 7F080280
	v_mov_b32_e32 v133, 0                                      // 000000005578: 7F0A0280
	v_mov_b32_e32 v134, 0                                      // 00000000557C: 7F0C0280
	v_mov_b32_e32 v135, 0                                      // 000000005580: 7F0E0280
	v_mov_b32_e32 v136, 0                                      // 000000005584: 7F100280
	v_mov_b32_e32 v137, 0                                      // 000000005588: 7F120280
	v_mov_b32_e32 v138, 0                                      // 00000000558C: 7F140280
	v_mov_b32_e32 v139, 0                                      // 000000005590: 7F160280
	v_mov_b32_e32 v140, 0                                      // 000000005594: 7F180280
	v_mov_b32_e32 v141, 0                                      // 000000005598: 7F1A0280
	v_mov_b32_e32 v142, 0                                      // 00000000559C: 7F1C0280
	v_mov_b32_e32 v143, 0                                      // 0000000055A0: 7F1E0280
	s_waitcnt lgkmcnt(0)                                       // 0000000055A4: BF8CC07F
	s_barrier                                                  // 0000000055A8: BF8A0000
	buffer_load_dword v32, v1, s[8:11], 0 idxen                // 0000000055AC: E0502000 80022001
	buffer_load_dword v33, v2, s[8:11], 0 idxen                // 0000000055B4: E0502000 80022102
	buffer_load_dword v34, v1, s[8:11], 0 idxen offset:128     // 0000000055BC: E0502080 80022201
	buffer_load_dword v35, v2, s[8:11], 0 idxen offset:128     // 0000000055C4: E0502080 80022302
	v_mov_b32_e32 v36, 0                                       // 0000000055CC: 7E480280
	s_mov_b64 exec, s[90:91]                                   // 0000000055D0: BEFE015A
	buffer_load_dword v36, v1, s[8:11], 0 idxen offset:256     // 0000000055D4: E0502100 80022401
	s_mov_b32 exec_lo, -1                                      // 0000000055DC: BEFE00C1
	s_mov_b32 exec_hi, -1                                      // 0000000055E0: BEFF00C1
	v_mov_b32_e32 v37, 0                                       // 0000000055E4: 7E4A0280
	s_mov_b64 exec, s[90:91]                                   // 0000000055E8: BEFE015A
	buffer_load_dword v37, v2, s[8:11], 0 idxen offset:256     // 0000000055EC: E0502100 80022502
	s_mov_b32 exec_lo, -1                                      // 0000000055F4: BEFE00C1
	s_mov_b32 exec_hi, -1                                      // 0000000055F8: BEFF00C1
	buffer_load_dword v44, v212, s[20:23], 0 idxen             // 0000000055FC: E0502000 80052CD4
	buffer_load_dword v45, v213, s[20:23], 0 idxen             // 000000005604: E0502000 80052DD5
	buffer_load_dword v46, v212, s[20:23], 0 idxen offset:128  // 00000000560C: E0502080 80052ED4
	buffer_load_dword v47, v213, s[20:23], 0 idxen offset:128  // 000000005614: E0502080 80052FD5
	v_mov_b32_e32 v48, 0                                       // 00000000561C: 7E600280
	s_mov_b64 exec, s[90:91]                                   // 000000005620: BEFE015A
	buffer_load_dword v48, v212, s[20:23], 0 idxen offset:256  // 000000005624: E0502100 800530D4
	s_mov_b32 exec_lo, -1                                      // 00000000562C: BEFE00C1
	s_mov_b32 exec_hi, -1                                      // 000000005630: BEFF00C1
	v_mov_b32_e32 v49, 0                                       // 000000005634: 7E620280
	s_mov_b64 exec, s[90:91]                                   // 000000005638: BEFE015A
	buffer_load_dword v49, v213, s[20:23], 0 idxen offset:256  // 00000000563C: E0502100 800531D5
	s_mov_b32 exec_lo, -1                                      // 000000005644: BEFE00C1
	s_mov_b32 exec_hi, -1                                      // 000000005648: BEFF00C1
	buffer_load_dword v9, s[24:27], 0 idxen lds                // 00000000564C: E0512000 80060009
	s_mov_b32 m0, s81                                          // 000000005654: BEFC0051
	v_add_u32_e32 v9, s69, v9                                  // 000000005658: 68121245
	v_add_u32_e32 v1, s68, v1                                  // 00000000565C: 68020244
	v_add_u32_e32 v2, s68, v2                                  // 000000005660: 68040444
	v_add_u32_e32 v212, s99, v212                              // 000000005664: 69A9A863
	v_add_u32_e32 v213, s99, v213                              // 000000005668: 69ABAA63
	v_mul_f32_e32 v128, s48, v128                              // 00000000566C: 0B010030
	v_perm_b32 v68, v39, v38, s63                              // 000000005670: D1ED0044 00FE4D27
	v_perm_b32 v69, v39, v38, s64                              // 000000005678: D1ED0045 01024D27
	v_perm_b32 v70, v41, v40, s63                              // 000000005680: D1ED0046 00FE5129
	v_perm_b32 v71, v41, v40, s64                              // 000000005688: D1ED0047 01025129
	v_perm_b32 v72, v43, v42, s63                              // 000000005690: D1ED0048 00FE552B
	v_perm_b32 v73, v43, v42, s64                              // 000000005698: D1ED0049 0102552B
	v_perm_b32 v74, v51, v50, s63                              // 0000000056A0: D1ED004A 00FE6533
	v_perm_b32 v75, v51, v50, s64                              // 0000000056A8: D1ED004B 01026533
	v_perm_b32 v76, v53, v52, s63                              // 0000000056B0: D1ED004C 00FE6935
	v_perm_b32 v77, v53, v52, s64                              // 0000000056B8: D1ED004D 01026935
	v_perm_b32 v78, v55, v54, s63                              // 0000000056C0: D1ED004E 00FE6D37
	v_perm_b32 v79, v55, v54, s64                              // 0000000056C8: D1ED004F 01026D37
	v_mov_b32_dpp v131, v128 quad_perm:[3,3,3,3] row_mask:0xf bank_mask:0xf// 0000000056D0: 7F0602FA FF00FF80
	v_mov_b32_dpp v130, v128 quad_perm:[2,2,2,2] row_mask:0xf bank_mask:0xf// 0000000056D8: 7F0402FA FF00AA80
	v_mov_b32_dpp v129, v128 quad_perm:[1,1,1,1] row_mask:0xf bank_mask:0xf// 0000000056E0: 7F0202FA FF005580
	v_mov_b32_dpp v128, v128 quad_perm:[0,0,0,0] row_mask:0xf bank_mask:0xf// 0000000056E8: 7F0002FA FF000080
	s_waitcnt vmcnt(13)                                        // 0000000056F0: BF8C0F7D
	s_barrier                                                  // 0000000056F4: BF8A0000
	s_cmp_lt_i32 s46, 2                                        // 0000000056F8: BF04822E
	s_cbranch_scc0 label_0AC4                                  // 0000000056FC: BF840484
	s_nop 0                                                    // 000000005700: BF800000
	s_nop 0                                                    // 000000005704: BF800000

0000000000005708 <label_0642>:
	s_waitcnt lgkmcnt(0)                                       // 000000005708: BF8CC07F
	s_barrier                                                  // 00000000570C: BF8A0000
	v_mfma_f32_16x16x16_bf16 v[56:59], a[72:73], a[0:1], 0     // 000000005710: D3E10038 1A020148
	ds_write_b32 v11, v50 offset:13056                         // 000000005718: D81A3300 0000320B
	ds_write_b32 v11, v51 offset:14112                         // 000000005720: D81A3720 0000330B
	ds_write_b32 v11, v52 offset:15232                         // 000000005728: D81A3B80 0000340B
	v_mfma_f32_16x16x16_bf16 v[56:59], a[74:75], a[2:3], v[56:59]// 000000005730: D3E10038 1CE2054A
	v_mul_f32_e32 v132, s47, v132                              // 000000005738: 0B09082F
	v_mul_f32_e32 v133, s47, v133                              // 00000000573C: 0B0B0A2F
	v_mul_f32_e32 v134, s47, v134                              // 000000005740: 0B0D0C2F
	v_mul_f32_e32 v135, s47, v135                              // 000000005744: 0B0F0E2F
	v_mfma_f32_16x16x16_bf16 v[56:59], a[76:77], a[4:5], v[56:59]// 000000005748: D3E10038 1CE2094C
	ds_write_b32 v11, v53 offset:16288                         // 000000005750: D81A3FA0 0000350B
	ds_write_b32 v11, v54 offset:17408                         // 000000005758: D81A4400 0000360B
	ds_write_b32 v11, v55 offset:18464                         // 000000005760: D81A4820 0000370B
	v_mfma_f32_16x16x16_bf16 v[56:59], a[78:79], a[6:7], v[56:59]// 000000005768: D3E10038 1CE20D4E
	v_mul_f32_e32 v136, s47, v136                              // 000000005770: 0B11102F
	v_mul_f32_e32 v137, s47, v137                              // 000000005774: 0B13122F
	v_mul_f32_e32 v138, s47, v138                              // 000000005778: 0B15142F
	v_mul_f32_e32 v139, s47, v139                              // 00000000577C: 0B17162F
	v_mfma_f32_16x16x16_bf16 v[56:59], a[80:81], a[8:9], v[56:59]// 000000005780: D3E10038 1CE21150
	ds_write_b64 v20, v[132:133] offset:28416                  // 000000005788: D89A6F00 00008414
	ds_write_b64 v20, v[134:135] offset:28928                  // 000000005790: D89A7100 00008614
	v_mfma_f32_16x16x16_bf16 v[56:59], a[82:83], a[10:11], v[56:59]// 000000005798: D3E10038 1CE21552
	v_mul_f32_e32 v140, s47, v140                              // 0000000057A0: 0B19182F
	v_mul_f32_e32 v141, s47, v141                              // 0000000057A4: 0B1B1A2F
	v_mul_f32_e32 v142, s47, v142                              // 0000000057A8: 0B1D1C2F
	v_mul_f32_e32 v143, s47, v143                              // 0000000057AC: 0B1F1E2F
	v_mfma_f32_16x16x16_bf16 v[56:59], a[84:85], a[12:13], v[56:59]// 0000000057B0: D3E10038 1CE21954
	ds_write_b64 v20, v[136:137] offset:29440                  // 0000000057B8: D89A7300 00008814
	ds_write_b64 v20, v[138:139] offset:29952                  // 0000000057C0: D89A7500 00008A14
	v_mfma_f32_16x16x16_bf16 v[56:59], a[86:87], a[14:15], v[56:59]// 0000000057C8: D3E10038 1CE21D56
	ds_write_b64 v20, v[140:141] offset:30464                  // 0000000057D0: D89A7700 00008C14
	ds_write_b64 v20, v[142:143] offset:30976                  // 0000000057D8: D89A7900 00008E14
	v_mfma_f32_16x16x16_bf16 v[56:59], a[88:89], a[16:17], v[56:59]// 0000000057E0: D3E10038 1CE22158
	ds_read_b128 v[104:107], v12 offset:19584                  // 0000000057E8: D9FE4C80 6800000C
	v_mfma_f32_16x16x16_bf16 v[56:59], a[90:91], a[18:19], v[56:59]// 0000000057F0: D3E10038 1CE2255A
	ds_read_b128 v[108:111], v12 offset:20096                  // 0000000057F8: D9FE4E80 6C00000C
	v_mfma_f32_16x16x16_bf16 v[56:59], a[92:93], a[20:21], v[56:59]// 000000005800: D3E10038 1CE2295C
	ds_read_b128 v[112:115], v12 offset:21760                  // 000000005808: D9FE5500 7000000C
	ds_read_b128 v[116:119], v12 offset:22272                  // 000000005810: D9FE5700 7400000C
	v_mfma_f32_16x16x16_bf16 v[56:59], a[94:95], a[22:23], v[56:59]// 000000005818: D3E10038 1CE22D5E
	ds_read_b128 v[120:123], v12 offset:23936                  // 000000005820: D9FE5D80 7800000C
	ds_read_b128 v[124:127], v12 offset:24448                  // 000000005828: D9FE5F80 7C00000C
	s_cmp_lt_i32 s74, 4                                        // 000000005830: BF04844A
	s_cbranch_scc0 label_06B8                                  // 000000005834: BF84002A
	s_mov_b32 s60, 0xffe0fffe                                  // 000000005838: BEBC00FF FFE0FFFE
	s_mov_b32 s61, 0xe000fe00                                  // 000000005840: BEBD00FF E000FE00
	s_nop 0                                                    // 000000005848: BF800000
	s_cmp_lt_i32 s74, s46                                      // 00000000584C: BF042E4A
	s_cbranch_scc1 label_06B3                                  // 000000005850: BF85001E
	s_cmp_eq_i32 s74, s46                                      // 000000005854: BF002E4A
	s_cbranch_scc1 label_0698                                  // 000000005858: BF850001
	s_branch label_06B8                                        // 00000000585C: BF820020

0000000000005860 <label_0698>:
	v_cndmask_b32_e64 v56, v56, v159, s[60:61]                 // 000000005860: D1000038 00F33F38
	s_lshl_b32 s60, s60, 1                                     // 000000005868: 8E3C813C
	s_lshl_b32 s61, s61, 1                                     // 00000000586C: 8E3D813D
	s_and_b32 s60, 0xfffeffff, s60                             // 000000005870: 863C3CFF FFFEFFFF
	s_and_b32 s61, 0xfffeffff, s61                             // 000000005878: 863D3DFF FFFEFFFF
	v_cndmask_b32_e64 v57, v57, v159, s[60:61]                 // 000000005880: D1000039 00F33F39
	s_lshl_b32 s60, s60, 1                                     // 000000005888: 8E3C813C
	s_lshl_b32 s61, s61, 1                                     // 00000000588C: 8E3D813D
	s_and_b32 s60, 0xfffeffff, s60                             // 000000005890: 863C3CFF FFFEFFFF
	s_and_b32 s61, 0xfffeffff, s61                             // 000000005898: 863D3DFF FFFEFFFF
	v_cndmask_b32_e64 v58, v58, v159, s[60:61]                 // 0000000058A0: D100003A 00F33F3A
	s_lshl_b32 s60, s60, 1                                     // 0000000058A8: 8E3C813C
	s_lshl_b32 s61, s61, 1                                     // 0000000058AC: 8E3D813D
	s_and_b32 s60, 0xfffeffff, s60                             // 0000000058B0: 863C3CFF FFFEFFFF
	s_and_b32 s61, 0xfffeffff, s61                             // 0000000058B8: 863D3DFF FFFEFFFF
	v_cndmask_b32_e64 v59, v59, v159, s[60:61]                 // 0000000058C0: D100003B 00F33F3B
	s_branch label_06B8                                        // 0000000058C8: BF820005

00000000000058cc <label_06B3>:
	v_mov_b32_e32 v56, v159                                    // 0000000058CC: 7E70039F
	v_mov_b32_e32 v57, v159                                    // 0000000058D0: 7E72039F
	v_mov_b32_e32 v58, v159                                    // 0000000058D4: 7E74039F
	v_mov_b32_e32 v59, v159                                    // 0000000058D8: 7E76039F
	s_branch label_06B8                                        // 0000000058DC: BF820000

00000000000058e0 <label_06B8>:
	s_cmp_lt_i32 s100, 64                                      // 0000000058E0: BF04C064
	s_cbranch_scc0 label_06C9                                  // 0000000058E4: BF84000F
	v_and_b32_e32 v28, 15, v0                                  // 0000000058E8: 2638008F
	v_mul_i32_i24_e64 v29, s46, 16                             // 0000000058EC: D106001D 0001202E
	v_add_u32_e32 v28, v28, v29                                // 0000000058F4: 68383B1C
	v_cmp_lt_u32_e64 s[60:61], v28, s100                       // 0000000058F8: D0C9003C 0000C91C
	s_nop 1                                                    // 000000005900: BF800001
	v_cndmask_b32_e64 v56, v159, v56, s[60:61]                 // 000000005904: D1000038 00F2719F
	v_cndmask_b32_e64 v57, v159, v57, s[60:61]                 // 00000000590C: D1000039 00F2739F
	v_cndmask_b32_e64 v58, v159, v58, s[60:61]                 // 000000005914: D100003A 00F2759F
	v_cndmask_b32_e64 v59, v159, v59, s[60:61]                 // 00000000591C: D100003B 00F2779F

0000000000005924 <label_06C9>:
	s_addk_i32 s74, 0x1                                        // 000000005924: B74A0001
	s_waitcnt lgkmcnt(6)                                       // 000000005928: BF8CC67F
	s_barrier                                                  // 00000000592C: BF8A0000
	v_mfma_f32_16x16x16_bf16 v[64:67], v[80:81], a[48:49], 0   // 000000005930: D3E10040 12026150
	ds_read_b128 a[72:75], v12 offset:6528                     // 000000005938: DBFE1980 4800000C
	ds_read_b128 a[76:79], v12 offset:7040                     // 000000005940: DBFE1B80 4C00000C
	ds_write_b32 v11, v38                                      // 000000005948: D81A0000 0000260B
	ds_write_b32 v11, v39 offset:1056                          // 000000005950: D81A0420 0000270B
	v_mfma_f32_16x16x16_bf16 v[64:67], v[82:83], a[50:51], v[64:67]// 000000005958: D3E10040 15026552
	v_fma_f32 v56, v56, s57, -v128                             // 000000005960: D1CB0038 86007338
	v_fma_f32 v57, v57, s57, -v129                             // 000000005968: D1CB0039 86047339
	v_fma_f32 v58, v58, s57, -v130                             // 000000005970: D1CB003A 8608733A
	v_fma_f32 v59, v59, s57, -v131                             // 000000005978: D1CB003B 860C733B
	v_mfma_f32_16x16x16_bf16 v[64:67], v[84:85], a[52:53], v[64:67]// 000000005980: D3E10040 15026954
	ds_read_b128 a[80:83], v12 offset:8704                     // 000000005988: DBFE2200 5000000C
	ds_read_b128 a[84:87], v12 offset:9216                     // 000000005990: DBFE2400 5400000C
	ds_write_b32 v11, v40 offset:2176                          // 000000005998: D81A0880 0000280B
	v_mfma_f32_16x16x16_bf16 v[64:67], v[86:87], a[54:55], v[64:67]// 0000000059A0: D3E10040 15026D56
	v_exp_f32_e32 v56, v56                                     // 0000000059A8: 7E704138
	v_mfma_f32_16x16x16_bf16 v[64:67], v[88:89], a[56:57], v[64:67]// 0000000059AC: D3E10040 15027158
	ds_read_b128 a[88:91], v12 offset:10880                    // 0000000059B4: DBFE2A80 5800000C
	ds_read_b128 a[92:95], v12 offset:11392                    // 0000000059BC: DBFE2C80 5C00000C
	ds_write_b32 v11, v41 offset:3232                          // 0000000059C4: D81A0CA0 0000290B
	v_mfma_f32_16x16x16_bf16 v[64:67], v[90:91], a[58:59], v[64:67]// 0000000059CC: D3E10040 1502755A
	v_exp_f32_e32 v57, v57                                     // 0000000059D4: 7E724139
	v_mfma_f32_16x16x16_bf16 v[64:67], v[92:93], a[60:61], v[64:67]// 0000000059D8: D3E10040 1502795C
	ds_read_b64 v[144:145], v19 offset:28416                   // 0000000059E0: D8EC6F00 90000013
	ds_read_b64 v[146:147], v19 offset:30464                   // 0000000059E8: D8EC7700 92000013
	ds_read_b64 v[148:149], v19 offset:32512                   // 0000000059F0: D8EC7F00 94000013
	ds_write_b32 v11, v42 offset:4352                          // 0000000059F8: D81A1100 00002A0B
	v_mfma_f32_16x16x16_bf16 v[64:67], v[94:95], a[62:63], v[64:67]// 000000005A00: D3E10040 15027D5E
	v_exp_f32_e32 v58, v58                                     // 000000005A08: 7E74413A
	v_mfma_f32_16x16x16_bf16 v[64:67], v[96:97], a[64:65], v[64:67]// 000000005A0C: D3E10040 15028160
	ds_read_b64 v[150:151], v19 offset:34560                   // 000000005A14: D8EC8700 96000013
	ds_read_b64 v[152:153], v19 offset:36608                   // 000000005A1C: D8EC8F00 98000013
	ds_read_b64 v[154:155], v19 offset:38656                   // 000000005A24: D8EC9700 9A000013
	ds_write_b32 v11, v43 offset:5408                          // 000000005A2C: D81A1520 00002B0B
	v_mfma_f32_16x16x16_bf16 v[64:67], v[98:99], a[66:67], v[64:67]// 000000005A34: D3E10040 15028562
	v_exp_f32_e32 v59, v59                                     // 000000005A3C: 7E76413B
	v_mfma_f32_16x16x16_bf16 v[64:67], v[100:101], a[68:69], v[64:67]// 000000005A40: D3E10040 15028964
	v_cmp_u_f32_e64 s[78:79], v56, v56                         // 000000005A48: D048004E 00027138
	v_bfe_u32 v208, v56, 16, 1                                 // 000000005A50: D1C800D0 02052138
	v_add3_u32 v208, v56, v208, v211                           // 000000005A58: D1FF00D0 074FA138
	v_cndmask_b32_e64 v28, v208, v210, s[78:79]                // 000000005A60: D100001C 013BA5D0
	v_lshrrev_b32_e32 v28, 16, v28                             // 000000005A68: 20383890
	v_cmp_u_f32_e64 s[78:79], v57, v57                         // 000000005A6C: D048004E 00027339
	v_bfe_u32 v208, v57, 16, 1                                 // 000000005A74: D1C800D0 02052139
	v_add3_u32 v208, v57, v208, v211                           // 000000005A7C: D1FF00D0 074FA139
	v_cndmask_b32_e64 v29, v208, v210, s[78:79]                // 000000005A84: D100001D 013BA5D0
	v_and_or_b32 v156, v29, v209, v28                          // 000000005A8C: D201009C 0473A31D
	v_mfma_f32_16x16x16_bf16 v[64:67], v[102:103], a[70:71], v[64:67]// 000000005A94: D3E10040 15028D66
	v_cmp_u_f32_e64 s[78:79], v58, v58                         // 000000005A9C: D048004E 0002753A
	v_bfe_u32 v208, v58, 16, 1                                 // 000000005AA4: D1C800D0 0205213A
	v_add3_u32 v208, v58, v208, v211                           // 000000005AAC: D1FF00D0 074FA13A
	v_cndmask_b32_e64 v28, v208, v210, s[78:79]                // 000000005AB4: D100001C 013BA5D0
	v_lshrrev_b32_e32 v28, 16, v28                             // 000000005ABC: 20383890
	v_cmp_u_f32_e64 s[78:79], v59, v59                         // 000000005AC0: D048004E 0002773B
	v_bfe_u32 v208, v59, 16, 1                                 // 000000005AC8: D1C800D0 0205213B
	v_add3_u32 v208, v59, v208, v211                           // 000000005AD0: D1FF00D0 074FA13B
	v_cndmask_b32_e64 v29, v208, v210, s[78:79]                // 000000005AD8: D100001D 013BA5D0
	v_and_or_b32 v157, v29, v209, v28                          // 000000005AE0: D201009D 0473A31D
	v_add_u32_e32 v7, s66, v7                                  // 000000005AE8: 680E0E42
	v_add_u32_e32 v8, s66, v8                                  // 000000005AEC: 68101042
	s_waitcnt lgkmcnt(0)                                       // 000000005AF0: BF8CC07F
	s_barrier                                                  // 000000005AF4: BF8A0000
	v_mfma_f32_16x16x16_bf16 v[160:163], v[104:105], v[156:157], v[160:163]// 000000005AF8: D3E100A0 06833968
	v_subrev_f32_dpp v64, v158, v64 quad_perm:[0,0,0,0] row_mask:0xf bank_mask:0xf// 000000005B00: 068080FA FF00009E
	v_subrev_f32_dpp v65, v158, v65 quad_perm:[1,1,1,1] row_mask:0xf bank_mask:0xf// 000000005B08: 068282FA FF00559E
	buffer_atomic_add_f32 v144, v7, s[32:35], 0 offen          // 000000005B10: E1341000 80089007
	v_mfma_f32_16x16x16_bf16 v[164:167], v[106:107], v[156:157], v[164:167]// 000000005B18: D3E100A4 0693396A
	v_subrev_f32_dpp v66, v158, v66 quad_perm:[2,2,2,2] row_mask:0xf bank_mask:0xf// 000000005B20: 068484FA FF00AA9E
	v_subrev_f32_dpp v67, v158, v67 quad_perm:[3,3,3,3] row_mask:0xf bank_mask:0xf// 000000005B28: 068686FA FF00FF9E
	buffer_atomic_add_f32 v145, v8, s[32:35], 0 offen          // 000000005B30: E1341000 80089108
	v_mfma_f32_16x16x16_bf16 v[168:171], v[108:109], v[156:157], v[168:171]// 000000005B38: D3E100A8 06A3396C
	v_mul_f32_e32 v64, v56, v64                                // 000000005B40: 0A808138
	v_mul_f32_e32 v65, v57, v65                                // 000000005B44: 0A828339
	buffer_atomic_add_f32 v146, v7, s[32:35], 0 offen offset:128// 000000005B48: E1341080 80089207
	v_mfma_f32_16x16x16_bf16 v[172:175], v[110:111], v[156:157], v[172:175]// 000000005B50: D3E100AC 06B3396E
	v_mul_f32_e32 v66, v58, v66                                // 000000005B58: 0A84853A
	v_mul_f32_e32 v67, v59, v67                                // 000000005B5C: 0A86873B
	buffer_atomic_add_f32 v147, v8, s[32:35], 0 offen offset:128// 000000005B60: E1341080 80089308
	v_mfma_f32_16x16x16_bf16 v[176:179], v[112:113], v[156:157], v[176:179]// 000000005B68: D3E100B0 06C33970
	v_cmp_u_f32_e64 s[78:79], v64, v64                         // 000000005B70: D048004E 00028140
	v_bfe_u32 v208, v64, 16, 1                                 // 000000005B78: D1C800D0 02052140
	v_add3_u32 v208, v64, v208, v211                           // 000000005B80: D1FF00D0 074FA140
	v_cndmask_b32_e64 v28, v208, v210, s[78:79]                // 000000005B88: D100001C 013BA5D0
	v_lshrrev_b32_e32 v28, 16, v28                             // 000000005B90: 20383890
	v_cmp_u_f32_e64 s[78:79], v65, v65                         // 000000005B94: D048004E 00028341
	v_bfe_u32 v208, v65, 16, 1                                 // 000000005B9C: D1C800D0 02052141
	v_add3_u32 v208, v65, v208, v211                           // 000000005BA4: D1FF00D0 074FA141
	v_cndmask_b32_e64 v29, v208, v210, s[78:79]                // 000000005BAC: D100001D 013BA5D0
	v_and_or_b32 v64, v29, v209, v28                           // 000000005BB4: D2010040 0473A31D
	v_mfma_f32_16x16x16_bf16 v[180:183], v[114:115], v[156:157], v[180:183]// 000000005BBC: D3E100B4 06D33972
	v_cmp_u_f32_e64 s[78:79], v66, v66                         // 000000005BC4: D048004E 00028542
	v_bfe_u32 v208, v66, 16, 1                                 // 000000005BCC: D1C800D0 02052142
	v_add3_u32 v208, v66, v208, v211                           // 000000005BD4: D1FF00D0 074FA142
	v_cndmask_b32_e64 v28, v208, v210, s[78:79]                // 000000005BDC: D100001C 013BA5D0
	v_lshrrev_b32_e32 v28, 16, v28                             // 000000005BE4: 20383890
	v_cmp_u_f32_e64 s[78:79], v67, v67                         // 000000005BE8: D048004E 00028743
	v_bfe_u32 v208, v67, 16, 1                                 // 000000005BF0: D1C800D0 02052143
	v_add3_u32 v208, v67, v208, v211                           // 000000005BF8: D1FF00D0 074FA143
	v_cndmask_b32_e64 v29, v208, v210, s[78:79]                // 000000005C00: D100001D 013BA5D0
	v_and_or_b32 v65, v29, v209, v28                           // 000000005C08: D2010041 0473A31D
	v_mfma_f32_16x16x16_bf16 v[184:187], v[116:117], v[156:157], v[184:187]// 000000005C10: D3E100B8 06E33974
	v_mov_b32_dpp v16, v64 quad_perm:[1,0,3,2] row_mask:0xf bank_mask:0xf// 000000005C18: 7E2002FA FF00B140
	v_perm_b32 v56, v16, v64, v15                              // 000000005C20: D1ED0038 043E8110
	buffer_atomic_add_f32 v148, v7, s[32:35], 0 offen offset:256// 000000005C28: E1341100 80089407
	v_mfma_f32_16x16x16_bf16 v[188:191], v[118:119], v[156:157], v[188:191]// 000000005C30: D3E100BC 06F33976
	v_mov_b32_dpp v16, v65 quad_perm:[1,0,3,2] row_mask:0xf bank_mask:0xf// 000000005C38: 7E2002FA FF00B141
	v_perm_b32 v57, v16, v65, v15                              // 000000005C40: D1ED0039 043E8310
	buffer_atomic_add_f32 v149, v8, s[32:35], 0 offen offset:256// 000000005C48: E1341100 80089508
	v_mfma_f32_16x16x16_bf16 v[192:195], v[120:121], v[156:157], v[192:195]// 000000005C50: D3E100C0 07033978
	ds_write_b32 v13, v68 offset:6528                          // 000000005C58: D81A1980 0000440D
	ds_write_b32 v13, v69 offset:7584                          // 000000005C60: D81A1DA0 0000450D
	v_mfma_f32_16x16x16_bf16 v[196:199], v[122:123], v[156:157], v[196:199]// 000000005C68: D3E100C4 0713397A
	ds_write_b32 v18, v56 offset:26112                         // 000000005C70: D81A6600 00003812
	ds_write_b32 v18, v57 offset:26656                         // 000000005C78: D81A6820 00003912
	v_mfma_f32_16x16x16_bf16 v[200:203], v[124:125], v[156:157], v[200:203]// 000000005C80: D3E100C8 0723397C
	ds_write_b32 v13, v70 offset:8704                          // 000000005C88: D81A2200 0000460D
	ds_write_b32 v13, v71 offset:9760                          // 000000005C90: D81A2620 0000470D
	v_mfma_f32_16x16x16_bf16 v[204:207], v[126:127], v[156:157], v[204:207]// 000000005C98: D3E100CC 0733397E
	ds_write_b32 v13, v72 offset:10880                         // 000000005CA0: D81A2A80 0000480D
	ds_write_b32 v13, v73 offset:11936                         // 000000005CA8: D81A2EA0 0000490D
	s_barrier                                                  // 000000005CB0: BF8A0000
	v_mfma_f32_16x16x16_bf16 a[96:99], a[72:73], v[64:65], a[96:99]// 000000005CB4: D3E18060 0D828148
	buffer_atomic_add_f32 v150, v7, s[32:35], 0 offen offset:384// 000000005CBC: E1341180 80089607
	buffer_atomic_add_f32 v151, v8, s[32:35], 0 offen offset:384// 000000005CC4: E1341180 80089708
	v_mfma_f32_16x16x16_bf16 a[100:103], a[74:75], v[64:65], a[100:103]// 000000005CCC: D3E18064 0D92814A
	ds_read_b32 v128, v21 offset:41216                         // 000000005CD4: D86CA100 80000015
	ds_read_b32 v158, v21 offset:41472                         // 000000005CDC: D86CA200 9E000015
	v_mfma_f32_16x16x16_bf16 a[104:107], a[76:77], v[64:65], a[104:107]// 000000005CE4: D3E18068 0DA2814C
	s_waitcnt lgkmcnt(6)                                       // 000000005CEC: BF8CC67F
	s_barrier                                                  // 000000005CF0: BF8A0000
	v_mfma_f32_16x16x16_bf16 a[108:111], a[78:79], v[64:65], a[108:111]// 000000005CF4: D3E1806C 0DB2814E
	ds_read_b128 v[56:59], v17 offset:26112                    // 000000005CFC: D9FE6600 38000011
	v_mfma_f32_16x16x16_bf16 a[112:115], a[80:81], v[64:65], a[112:115]// 000000005D04: D3E18070 0DC28150
	s_mov_b64 exec, s[94:95]                                   // 000000005D0C: BEFE015E
	buffer_atomic_add_f32 v152, v7, s[32:35], 0 offen offset:512// 000000005D10: E1341200 80089807
	s_mov_b32 exec_lo, -1                                      // 000000005D18: BEFE00C1
	s_mov_b32 exec_hi, -1                                      // 000000005D1C: BEFF00C1
	v_mfma_f32_16x16x16_bf16 a[116:119], a[82:83], v[64:65], a[116:119]// 000000005D20: D3E18074 0DD28152
	ds_read_b128 v[60:63], v17 offset:27264                    // 000000005D28: D9FE6A80 3C000011
	v_mfma_f32_16x16x16_bf16 a[120:123], a[84:85], v[64:65], a[120:123]// 000000005D30: D3E18078 0DE28154
	s_mov_b64 exec, s[94:95]                                   // 000000005D38: BEFE015E
	buffer_atomic_add_f32 v153, v8, s[32:35], 0 offen offset:512// 000000005D3C: E1341200 80089908
	s_mov_b32 exec_lo, -1                                      // 000000005D44: BEFE00C1
	s_mov_b32 exec_hi, -1                                      // 000000005D48: BEFF00C1
	v_mfma_f32_16x16x16_bf16 a[124:127], a[86:87], v[64:65], a[124:127]// 000000005D4C: D3E1807C 0DF28156
	ds_write_b32 v13, v74 offset:19584                         // 000000005D54: D81A4C80 00004A0D
	ds_write_b32 v13, v75 offset:20640                         // 000000005D5C: D81A50A0 00004B0D
	v_mfma_f32_16x16x16_bf16 a[128:131], a[88:89], v[64:65], a[128:131]// 000000005D64: D3E18080 0E028158
	s_mov_b64 exec, s[96:97]                                   // 000000005D6C: BEFE0160
	buffer_atomic_add_f32 v154, v7, s[32:35], 0 offen offset:640// 000000005D70: E1341280 80089A07
	s_mov_b32 exec_lo, -1                                      // 000000005D78: BEFE00C1
	s_mov_b32 exec_hi, -1                                      // 000000005D7C: BEFF00C1
	v_mfma_f32_16x16x16_bf16 a[132:135], a[90:91], v[64:65], a[132:135]// 000000005D80: D3E18084 0E12815A
	ds_write_b32 v13, v76 offset:21760                         // 000000005D88: D81A5500 00004C0D
	ds_write_b32 v13, v77 offset:22816                         // 000000005D90: D81A5920 00004D0D
	v_mfma_f32_16x16x16_bf16 a[136:139], a[92:93], v[64:65], a[136:139]// 000000005D98: D3E18088 0E22815C
	s_mov_b64 exec, s[96:97]                                   // 000000005DA0: BEFE0160
	buffer_atomic_add_f32 v155, v8, s[32:35], 0 offen offset:640// 000000005DA4: E1341280 80089B08
	s_mov_b32 exec_lo, -1                                      // 000000005DAC: BEFE00C1
	s_mov_b32 exec_hi, -1                                      // 000000005DB0: BEFF00C1
	v_mfma_f32_16x16x16_bf16 a[140:143], a[94:95], v[64:65], a[140:143]// 000000005DB4: D3E1808C 0E32815E
	ds_write_b32 v13, v78 offset:23936                         // 000000005DBC: D81A5D80 00004E0D
	ds_write_b32 v13, v79 offset:24992                         // 000000005DC4: D81A61A0 00004F0D
	s_waitcnt vmcnt(12) lgkmcnt(6)                             // 000000005DCC: BF8C067C
	s_barrier                                                  // 000000005DD0: BF8A0000
	v_mfma_f32_16x16x16_bf16 v[132:135], v[56:57], a[24:25], 0 // 000000005DD4: D3E10084 12023138
	v_mul_f32_e32 v128, s48, v128                              // 000000005DDC: 0B010030
	v_perm_b32 v68, v33, v32, s63                              // 000000005DE0: D1ED0044 00FE4121
	v_perm_b32 v69, v33, v32, s64                              // 000000005DE8: D1ED0045 01024121
	v_perm_b32 v70, v35, v34, s63                              // 000000005DF0: D1ED0046 00FE4523
	v_mfma_f32_16x16x16_bf16 v[132:135], v[58:59], a[30:31], v[132:135]// 000000005DF8: D3E10084 16123D3A
	ds_read_b128 a[72:75], v10                                 // 000000005E00: DBFE0000 4800000A
	ds_read_b128 a[76:79], v10 offset:512                      // 000000005E08: DBFE0200 4C00000A
	ds_read_b128 a[80:83], v10 offset:2176                     // 000000005E10: DBFE0880 5000000A
	buffer_load_dword v38, v1, s[8:11], 0 idxen                // 000000005E18: E0502000 80022601
	buffer_load_dword v39, v2, s[8:11], 0 idxen                // 000000005E20: E0502000 80022702
	v_mfma_f32_16x16x16_bf16 v[132:135], v[60:61], a[36:37], v[132:135]// 000000005E28: D3E10084 1612493C
	v_perm_b32 v71, v35, v34, s64                              // 000000005E30: D1ED0047 01024523
	v_perm_b32 v72, v37, v36, s63                              // 000000005E38: D1ED0048 00FE4925
	v_perm_b32 v73, v37, v36, s64                              // 000000005E40: D1ED0049 01024925
	v_mfma_f32_16x16x16_bf16 v[132:135], v[62:63], a[42:43], v[132:135]// 000000005E48: D3E10084 1612553E
	ds_read_b128 a[84:87], v10 offset:2688                     // 000000005E50: DBFE0A80 5400000A
	ds_read_b128 a[88:91], v10 offset:4352                     // 000000005E58: DBFE1100 5800000A
	ds_read_b128 a[92:95], v10 offset:4864                     // 000000005E60: DBFE1300 5C00000A
	buffer_load_dword v40, v1, s[8:11], 0 idxen offset:128     // 000000005E68: E0502080 80022801
	buffer_load_dword v41, v2, s[8:11], 0 idxen offset:128     // 000000005E70: E0502080 80022902
	v_mfma_f32_16x16x16_bf16 v[136:139], v[56:57], a[26:27], 0 // 000000005E78: D3E10088 12023538
	v_perm_b32 v74, v45, v44, s63                              // 000000005E80: D1ED004A 00FE592D
	v_perm_b32 v75, v45, v44, s64                              // 000000005E88: D1ED004B 0102592D
	v_perm_b32 v76, v47, v46, s63                              // 000000005E90: D1ED004C 00FE5D2F
	v_mov_b32_dpp v131, v128 quad_perm:[3,3,3,3] row_mask:0xf bank_mask:0xf// 000000005E98: 7F0602FA FF00FF80
	v_mov_b32_dpp v130, v128 quad_perm:[2,2,2,2] row_mask:0xf bank_mask:0xf// 000000005EA0: 7F0402FA FF00AA80
	v_mfma_f32_16x16x16_bf16 v[136:139], v[58:59], a[32:33], v[136:139]// 000000005EA8: D3E10088 1622413A
	ds_read_b128 v[80:83], v10 offset:13056                    // 000000005EB0: D9FE3300 5000000A
	ds_read_b128 v[84:87], v10 offset:13568                    // 000000005EB8: D9FE3500 5400000A
	ds_read_b128 v[88:91], v10 offset:15232                    // 000000005EC0: D9FE3B80 5800000A
	buffer_load_dword v50, v212, s[20:23], 0 idxen             // 000000005EC8: E0502000 800532D4
	buffer_load_dword v51, v213, s[20:23], 0 idxen             // 000000005ED0: E0502000 800533D5
	v_mfma_f32_16x16x16_bf16 v[136:139], v[60:61], a[38:39], v[136:139]// 000000005ED8: D3E10088 16224D3C
	v_perm_b32 v77, v47, v46, s64                              // 000000005EE0: D1ED004D 01025D2F
	v_perm_b32 v78, v49, v48, s63                              // 000000005EE8: D1ED004E 00FE6131
	v_perm_b32 v79, v49, v48, s64                              // 000000005EF0: D1ED004F 01026131
	v_mov_b32_dpp v129, v128 quad_perm:[1,1,1,1] row_mask:0xf bank_mask:0xf// 000000005EF8: 7F0202FA FF005580
	v_mov_b32_dpp v128, v128 quad_perm:[0,0,0,0] row_mask:0xf bank_mask:0xf// 000000005F00: 7F0002FA FF000080
	v_mfma_f32_16x16x16_bf16 v[136:139], v[62:63], a[44:45], v[136:139]// 000000005F08: D3E10088 1622593E
	ds_read_b128 v[92:95], v10 offset:15744                    // 000000005F10: D9FE3D80 5C00000A
	ds_read_b128 v[96:99], v10 offset:17408                    // 000000005F18: D9FE4400 6000000A
	ds_read_b128 v[100:103], v10 offset:17920                  // 000000005F20: D9FE4600 6400000A
	buffer_load_dword v52, v212, s[20:23], 0 idxen offset:128  // 000000005F28: E0502080 800534D4
	buffer_load_dword v53, v213, s[20:23], 0 idxen offset:128  // 000000005F30: E0502080 800535D5
	v_mfma_f32_16x16x16_bf16 v[140:143], v[56:57], a[28:29], 0 // 000000005F38: D3E1008C 12023938
	s_add_u32 s60, 64, s59                                     // 000000005F40: 803C3BC0
	s_cmp_lt_u32 s60, s58                                      // 000000005F44: BF0A3A3C
	s_cselect_b32 s68, s68, 0                                  // 000000005F48: 85448044
	s_cselect_b32 s99, s99, 0                                  // 000000005F4C: 85638063
	s_cselect_b32 s69, s69, 0                                  // 000000005F50: 85458045
	v_mfma_f32_16x16x16_bf16 v[140:143], v[58:59], a[34:35], v[140:143]// 000000005F54: D3E1008C 1632453A
	buffer_load_dword v9, s[24:27], 0 idxen lds                // 000000005F5C: E0512000 80060009
	v_mov_b32_e32 v42, 0                                       // 000000005F64: 7E540280
	s_mov_b64 exec, s[90:91]                                   // 000000005F68: BEFE015A
	buffer_load_dword v42, v1, s[8:11], 0 idxen offset:256     // 000000005F6C: E0502100 80022A01
	s_mov_b32 exec_lo, -1                                      // 000000005F74: BEFE00C1
	s_mov_b32 exec_hi, -1                                      // 000000005F78: BEFF00C1
	v_mov_b32_e32 v43, 0                                       // 000000005F7C: 7E560280
	s_mov_b64 exec, s[90:91]                                   // 000000005F80: BEFE015A
	buffer_load_dword v43, v2, s[8:11], 0 idxen offset:256     // 000000005F84: E0502100 80022B02
	s_mov_b32 exec_lo, -1                                      // 000000005F8C: BEFE00C1
	s_mov_b32 exec_hi, -1                                      // 000000005F90: BEFF00C1
	v_mfma_f32_16x16x16_bf16 v[140:143], v[60:61], a[40:41], v[140:143]// 000000005F94: D3E1008C 1632513C
	v_mov_b32_e32 v54, 0                                       // 000000005F9C: 7E6C0280
	s_mov_b64 exec, s[90:91]                                   // 000000005FA0: BEFE015A
	buffer_load_dword v54, v212, s[20:23], 0 idxen offset:256  // 000000005FA4: E0502100 800536D4
	s_mov_b32 exec_lo, -1                                      // 000000005FAC: BEFE00C1
	s_mov_b32 exec_hi, -1                                      // 000000005FB0: BEFF00C1
	v_mov_b32_e32 v55, 0                                       // 000000005FB4: 7E6E0280
	s_mov_b64 exec, s[90:91]                                   // 000000005FB8: BEFE015A
	buffer_load_dword v55, v213, s[20:23], 0 idxen offset:256  // 000000005FBC: E0502100 800537D5
	s_mov_b32 exec_lo, -1                                      // 000000005FC4: BEFE00C1
	s_mov_b32 exec_hi, -1                                      // 000000005FC8: BEFF00C1
	v_add_u32_e32 v1, s68, v1                                  // 000000005FCC: 68020244
	v_add_u32_e32 v2, s68, v2                                  // 000000005FD0: 68040444
	v_add_u32_e32 v212, s99, v212                              // 000000005FD4: 69A9A863
	v_add_u32_e32 v213, s99, v213                              // 000000005FD8: 69ABAA63
	s_mov_b32 m0, s80                                          // 000000005FDC: BEFC0050
	v_add_u32_e32 v9, s69, v9                                  // 000000005FE0: 68121245
	v_mfma_f32_16x16x16_bf16 v[140:143], v[62:63], a[46:47], v[140:143]// 000000005FE4: D3E1008C 16325D3E
	s_cmp_ge_u32 s59, s73                                      // 000000005FEC: BF09493B
	s_cselect_b32 s66, s67, s66                                // 000000005FF0: 85424243
	s_addk_i32 s59, 0x10                                       // 000000005FF4: B73B0010
	s_nop 0                                                    // 000000005FF8: BF800000
	s_cmp_lt_i32 s59, s58                                      // 000000005FFC: BF043A3B
	s_cbranch_scc0 label_0AC1                                  // 000000006000: BF840240
	s_waitcnt lgkmcnt(0)                                       // 000000006004: BF8CC07F
	s_barrier                                                  // 000000006008: BF8A0000
	v_mfma_f32_16x16x16_bf16 v[56:59], a[72:73], a[0:1], 0     // 00000000600C: D3E10038 1A020148
	ds_write_b32 v11, v44 offset:13056                         // 000000006014: D81A3300 00002C0B
	ds_write_b32 v11, v45 offset:14112                         // 00000000601C: D81A3720 00002D0B
	ds_write_b32 v11, v46 offset:15232                         // 000000006024: D81A3B80 00002E0B
	v_mfma_f32_16x16x16_bf16 v[56:59], a[74:75], a[2:3], v[56:59]// 00000000602C: D3E10038 1CE2054A
	v_mul_f32_e32 v132, s47, v132                              // 000000006034: 0B09082F
	v_mul_f32_e32 v133, s47, v133                              // 000000006038: 0B0B0A2F
	v_mul_f32_e32 v134, s47, v134                              // 00000000603C: 0B0D0C2F
	v_mul_f32_e32 v135, s47, v135                              // 000000006040: 0B0F0E2F
	v_mfma_f32_16x16x16_bf16 v[56:59], a[76:77], a[4:5], v[56:59]// 000000006044: D3E10038 1CE2094C
	ds_write_b32 v11, v47 offset:16288                         // 00000000604C: D81A3FA0 00002F0B
	ds_write_b32 v11, v48 offset:17408                         // 000000006054: D81A4400 0000300B
	ds_write_b32 v11, v49 offset:18464                         // 00000000605C: D81A4820 0000310B
	v_mfma_f32_16x16x16_bf16 v[56:59], a[78:79], a[6:7], v[56:59]// 000000006064: D3E10038 1CE20D4E
	v_mul_f32_e32 v136, s47, v136                              // 00000000606C: 0B11102F
	v_mul_f32_e32 v137, s47, v137                              // 000000006070: 0B13122F
	v_mul_f32_e32 v138, s47, v138                              // 000000006074: 0B15142F
	v_mul_f32_e32 v139, s47, v139                              // 000000006078: 0B17162F
	v_mfma_f32_16x16x16_bf16 v[56:59], a[80:81], a[8:9], v[56:59]// 00000000607C: D3E10038 1CE21150
	ds_write_b64 v20, v[132:133] offset:28416                  // 000000006084: D89A6F00 00008414
	ds_write_b64 v20, v[134:135] offset:28928                  // 00000000608C: D89A7100 00008614
	v_mfma_f32_16x16x16_bf16 v[56:59], a[82:83], a[10:11], v[56:59]// 000000006094: D3E10038 1CE21552
	v_mul_f32_e32 v140, s47, v140                              // 00000000609C: 0B19182F
	v_mul_f32_e32 v141, s47, v141                              // 0000000060A0: 0B1B1A2F
	v_mul_f32_e32 v142, s47, v142                              // 0000000060A4: 0B1D1C2F
	v_mul_f32_e32 v143, s47, v143                              // 0000000060A8: 0B1F1E2F
	v_mfma_f32_16x16x16_bf16 v[56:59], a[84:85], a[12:13], v[56:59]// 0000000060AC: D3E10038 1CE21954
	ds_write_b64 v20, v[136:137] offset:29440                  // 0000000060B4: D89A7300 00008814
	ds_write_b64 v20, v[138:139] offset:29952                  // 0000000060BC: D89A7500 00008A14
	v_mfma_f32_16x16x16_bf16 v[56:59], a[86:87], a[14:15], v[56:59]// 0000000060C4: D3E10038 1CE21D56
	ds_write_b64 v20, v[140:141] offset:30464                  // 0000000060CC: D89A7700 00008C14
	ds_write_b64 v20, v[142:143] offset:30976                  // 0000000060D4: D89A7900 00008E14
	v_mfma_f32_16x16x16_bf16 v[56:59], a[88:89], a[16:17], v[56:59]// 0000000060DC: D3E10038 1CE22158
	ds_read_b128 v[104:107], v12 offset:19584                  // 0000000060E4: D9FE4C80 6800000C
	v_mfma_f32_16x16x16_bf16 v[56:59], a[90:91], a[18:19], v[56:59]// 0000000060EC: D3E10038 1CE2255A
	ds_read_b128 v[108:111], v12 offset:20096                  // 0000000060F4: D9FE4E80 6C00000C
	v_mfma_f32_16x16x16_bf16 v[56:59], a[92:93], a[20:21], v[56:59]// 0000000060FC: D3E10038 1CE2295C
	ds_read_b128 v[112:115], v12 offset:21760                  // 000000006104: D9FE5500 7000000C
	ds_read_b128 v[116:119], v12 offset:22272                  // 00000000610C: D9FE5700 7400000C
	v_mfma_f32_16x16x16_bf16 v[56:59], a[94:95], a[22:23], v[56:59]// 000000006114: D3E10038 1CE22D5E
	ds_read_b128 v[120:123], v12 offset:23936                  // 00000000611C: D9FE5D80 7800000C
	ds_read_b128 v[124:127], v12 offset:24448                  // 000000006124: D9FE5F80 7C00000C
	s_cmp_lt_i32 s74, 4                                        // 00000000612C: BF04844A
	s_cbranch_scc0 label_08F7                                  // 000000006130: BF84002A
	s_mov_b32 s60, 0xffe0fffe                                  // 000000006134: BEBC00FF FFE0FFFE
	s_mov_b32 s61, 0xe000fe00                                  // 00000000613C: BEBD00FF E000FE00
	s_nop 0                                                    // 000000006144: BF800000
	s_cmp_lt_i32 s74, s46                                      // 000000006148: BF042E4A
	s_cbranch_scc1 label_08F2                                  // 00000000614C: BF85001E
	s_cmp_eq_i32 s74, s46                                      // 000000006150: BF002E4A
	s_cbranch_scc1 label_08D7                                  // 000000006154: BF850001
	s_branch label_08F7                                        // 000000006158: BF820020

000000000000615c <label_08D7>:
	v_cndmask_b32_e64 v56, v56, v159, s[60:61]                 // 00000000615C: D1000038 00F33F38
	s_lshl_b32 s60, s60, 1                                     // 000000006164: 8E3C813C
	s_lshl_b32 s61, s61, 1                                     // 000000006168: 8E3D813D
	s_and_b32 s60, 0xfffeffff, s60                             // 00000000616C: 863C3CFF FFFEFFFF
	s_and_b32 s61, 0xfffeffff, s61                             // 000000006174: 863D3DFF FFFEFFFF
	v_cndmask_b32_e64 v57, v57, v159, s[60:61]                 // 00000000617C: D1000039 00F33F39
	s_lshl_b32 s60, s60, 1                                     // 000000006184: 8E3C813C
	s_lshl_b32 s61, s61, 1                                     // 000000006188: 8E3D813D
	s_and_b32 s60, 0xfffeffff, s60                             // 00000000618C: 863C3CFF FFFEFFFF
	s_and_b32 s61, 0xfffeffff, s61                             // 000000006194: 863D3DFF FFFEFFFF
	v_cndmask_b32_e64 v58, v58, v159, s[60:61]                 // 00000000619C: D100003A 00F33F3A
	s_lshl_b32 s60, s60, 1                                     // 0000000061A4: 8E3C813C
	s_lshl_b32 s61, s61, 1                                     // 0000000061A8: 8E3D813D
	s_and_b32 s60, 0xfffeffff, s60                             // 0000000061AC: 863C3CFF FFFEFFFF
	s_and_b32 s61, 0xfffeffff, s61                             // 0000000061B4: 863D3DFF FFFEFFFF
	v_cndmask_b32_e64 v59, v59, v159, s[60:61]                 // 0000000061BC: D100003B 00F33F3B
	s_branch label_08F7                                        // 0000000061C4: BF820005

00000000000061c8 <label_08F2>:
	v_mov_b32_e32 v56, v159                                    // 0000000061C8: 7E70039F
	v_mov_b32_e32 v57, v159                                    // 0000000061CC: 7E72039F
	v_mov_b32_e32 v58, v159                                    // 0000000061D0: 7E74039F
	v_mov_b32_e32 v59, v159                                    // 0000000061D4: 7E76039F
	s_branch label_08F7                                        // 0000000061D8: BF820000

00000000000061dc <label_08F7>:
	s_cmp_lt_i32 s100, 64                                      // 0000000061DC: BF04C064
	s_cbranch_scc0 label_0908                                  // 0000000061E0: BF84000F
	v_and_b32_e32 v28, 15, v0                                  // 0000000061E4: 2638008F
	v_mul_i32_i24_e64 v29, s46, 16                             // 0000000061E8: D106001D 0001202E
	v_add_u32_e32 v28, v28, v29                                // 0000000061F0: 68383B1C
	v_cmp_lt_u32_e64 s[60:61], v28, s100                       // 0000000061F4: D0C9003C 0000C91C
	s_nop 1                                                    // 0000000061FC: BF800001
	v_cndmask_b32_e64 v56, v159, v56, s[60:61]                 // 000000006200: D1000038 00F2719F
	v_cndmask_b32_e64 v57, v159, v57, s[60:61]                 // 000000006208: D1000039 00F2739F
	v_cndmask_b32_e64 v58, v159, v58, s[60:61]                 // 000000006210: D100003A 00F2759F
	v_cndmask_b32_e64 v59, v159, v59, s[60:61]                 // 000000006218: D100003B 00F2779F

0000000000006220 <label_0908>:
	s_addk_i32 s74, 0x1                                        // 000000006220: B74A0001
	s_waitcnt lgkmcnt(6)                                       // 000000006224: BF8CC67F
	s_barrier                                                  // 000000006228: BF8A0000
	v_mfma_f32_16x16x16_bf16 v[64:67], v[80:81], a[48:49], 0   // 00000000622C: D3E10040 12026150
	ds_read_b128 a[72:75], v12 offset:6528                     // 000000006234: DBFE1980 4800000C
	ds_read_b128 a[76:79], v12 offset:7040                     // 00000000623C: DBFE1B80 4C00000C
	ds_write_b32 v11, v32                                      // 000000006244: D81A0000 0000200B
	ds_write_b32 v11, v33 offset:1056                          // 00000000624C: D81A0420 0000210B
	v_mfma_f32_16x16x16_bf16 v[64:67], v[82:83], a[50:51], v[64:67]// 000000006254: D3E10040 15026552
	v_fma_f32 v56, v56, s57, -v128                             // 00000000625C: D1CB0038 86007338
	v_fma_f32 v57, v57, s57, -v129                             // 000000006264: D1CB0039 86047339
	v_fma_f32 v58, v58, s57, -v130                             // 00000000626C: D1CB003A 8608733A
	v_fma_f32 v59, v59, s57, -v131                             // 000000006274: D1CB003B 860C733B
	v_mfma_f32_16x16x16_bf16 v[64:67], v[84:85], a[52:53], v[64:67]// 00000000627C: D3E10040 15026954
	ds_read_b128 a[80:83], v12 offset:8704                     // 000000006284: DBFE2200 5000000C
	ds_read_b128 a[84:87], v12 offset:9216                     // 00000000628C: DBFE2400 5400000C
	ds_write_b32 v11, v34 offset:2176                          // 000000006294: D81A0880 0000220B
	v_mfma_f32_16x16x16_bf16 v[64:67], v[86:87], a[54:55], v[64:67]// 00000000629C: D3E10040 15026D56
	v_exp_f32_e32 v56, v56                                     // 0000000062A4: 7E704138
	v_mfma_f32_16x16x16_bf16 v[64:67], v[88:89], a[56:57], v[64:67]// 0000000062A8: D3E10040 15027158
	ds_read_b128 a[88:91], v12 offset:10880                    // 0000000062B0: DBFE2A80 5800000C
	ds_read_b128 a[92:95], v12 offset:11392                    // 0000000062B8: DBFE2C80 5C00000C
	ds_write_b32 v11, v35 offset:3232                          // 0000000062C0: D81A0CA0 0000230B
	v_mfma_f32_16x16x16_bf16 v[64:67], v[90:91], a[58:59], v[64:67]// 0000000062C8: D3E10040 1502755A
	v_exp_f32_e32 v57, v57                                     // 0000000062D0: 7E724139
	v_mfma_f32_16x16x16_bf16 v[64:67], v[92:93], a[60:61], v[64:67]// 0000000062D4: D3E10040 1502795C
	ds_read_b64 v[144:145], v19 offset:28416                   // 0000000062DC: D8EC6F00 90000013
	ds_read_b64 v[146:147], v19 offset:30464                   // 0000000062E4: D8EC7700 92000013
	ds_read_b64 v[148:149], v19 offset:32512                   // 0000000062EC: D8EC7F00 94000013
	ds_write_b32 v11, v36 offset:4352                          // 0000000062F4: D81A1100 0000240B
	v_mfma_f32_16x16x16_bf16 v[64:67], v[94:95], a[62:63], v[64:67]// 0000000062FC: D3E10040 15027D5E
	v_exp_f32_e32 v58, v58                                     // 000000006304: 7E74413A
	v_mfma_f32_16x16x16_bf16 v[64:67], v[96:97], a[64:65], v[64:67]// 000000006308: D3E10040 15028160
	ds_read_b64 v[150:151], v19 offset:34560                   // 000000006310: D8EC8700 96000013
	ds_read_b64 v[152:153], v19 offset:36608                   // 000000006318: D8EC8F00 98000013
	ds_read_b64 v[154:155], v19 offset:38656                   // 000000006320: D8EC9700 9A000013
	ds_write_b32 v11, v37 offset:5408                          // 000000006328: D81A1520 0000250B
	v_mfma_f32_16x16x16_bf16 v[64:67], v[98:99], a[66:67], v[64:67]// 000000006330: D3E10040 15028562
	v_exp_f32_e32 v59, v59                                     // 000000006338: 7E76413B
	v_mfma_f32_16x16x16_bf16 v[64:67], v[100:101], a[68:69], v[64:67]// 00000000633C: D3E10040 15028964
	v_cmp_u_f32_e64 s[78:79], v56, v56                         // 000000006344: D048004E 00027138
	v_bfe_u32 v208, v56, 16, 1                                 // 00000000634C: D1C800D0 02052138
	v_add3_u32 v208, v56, v208, v211                           // 000000006354: D1FF00D0 074FA138
	v_cndmask_b32_e64 v28, v208, v210, s[78:79]                // 00000000635C: D100001C 013BA5D0
	v_lshrrev_b32_e32 v28, 16, v28                             // 000000006364: 20383890
	v_cmp_u_f32_e64 s[78:79], v57, v57                         // 000000006368: D048004E 00027339
	v_bfe_u32 v208, v57, 16, 1                                 // 000000006370: D1C800D0 02052139
	v_add3_u32 v208, v57, v208, v211                           // 000000006378: D1FF00D0 074FA139
	v_cndmask_b32_e64 v29, v208, v210, s[78:79]                // 000000006380: D100001D 013BA5D0
	v_and_or_b32 v156, v29, v209, v28                          // 000000006388: D201009C 0473A31D
	v_mfma_f32_16x16x16_bf16 v[64:67], v[102:103], a[70:71], v[64:67]// 000000006390: D3E10040 15028D66
	v_cmp_u_f32_e64 s[78:79], v58, v58                         // 000000006398: D048004E 0002753A
	v_bfe_u32 v208, v58, 16, 1                                 // 0000000063A0: D1C800D0 0205213A
	v_add3_u32 v208, v58, v208, v211                           // 0000000063A8: D1FF00D0 074FA13A
	v_cndmask_b32_e64 v28, v208, v210, s[78:79]                // 0000000063B0: D100001C 013BA5D0
	v_lshrrev_b32_e32 v28, 16, v28                             // 0000000063B8: 20383890
	v_cmp_u_f32_e64 s[78:79], v59, v59                         // 0000000063BC: D048004E 0002773B
	v_bfe_u32 v208, v59, 16, 1                                 // 0000000063C4: D1C800D0 0205213B
	v_add3_u32 v208, v59, v208, v211                           // 0000000063CC: D1FF00D0 074FA13B
	v_cndmask_b32_e64 v29, v208, v210, s[78:79]                // 0000000063D4: D100001D 013BA5D0
	v_and_or_b32 v157, v29, v209, v28                          // 0000000063DC: D201009D 0473A31D
	v_add_u32_e32 v7, s66, v7                                  // 0000000063E4: 680E0E42
	v_add_u32_e32 v8, s66, v8                                  // 0000000063E8: 68101042
	s_waitcnt lgkmcnt(0)                                       // 0000000063EC: BF8CC07F
	s_barrier                                                  // 0000000063F0: BF8A0000
	v_mfma_f32_16x16x16_bf16 v[160:163], v[104:105], v[156:157], v[160:163]// 0000000063F4: D3E100A0 06833968
	v_subrev_f32_dpp v64, v158, v64 quad_perm:[0,0,0,0] row_mask:0xf bank_mask:0xf// 0000000063FC: 068080FA FF00009E
	v_subrev_f32_dpp v65, v158, v65 quad_perm:[1,1,1,1] row_mask:0xf bank_mask:0xf// 000000006404: 068282FA FF00559E
	buffer_atomic_add_f32 v144, v7, s[32:35], 0 offen          // 00000000640C: E1341000 80089007
	v_mfma_f32_16x16x16_bf16 v[164:167], v[106:107], v[156:157], v[164:167]// 000000006414: D3E100A4 0693396A
	v_subrev_f32_dpp v66, v158, v66 quad_perm:[2,2,2,2] row_mask:0xf bank_mask:0xf// 00000000641C: 068484FA FF00AA9E
	v_subrev_f32_dpp v67, v158, v67 quad_perm:[3,3,3,3] row_mask:0xf bank_mask:0xf// 000000006424: 068686FA FF00FF9E
	buffer_atomic_add_f32 v145, v8, s[32:35], 0 offen          // 00000000642C: E1341000 80089108
	v_mfma_f32_16x16x16_bf16 v[168:171], v[108:109], v[156:157], v[168:171]// 000000006434: D3E100A8 06A3396C
	v_mul_f32_e32 v64, v56, v64                                // 00000000643C: 0A808138
	v_mul_f32_e32 v65, v57, v65                                // 000000006440: 0A828339
	buffer_atomic_add_f32 v146, v7, s[32:35], 0 offen offset:128// 000000006444: E1341080 80089207
	v_mfma_f32_16x16x16_bf16 v[172:175], v[110:111], v[156:157], v[172:175]// 00000000644C: D3E100AC 06B3396E
	v_mul_f32_e32 v66, v58, v66                                // 000000006454: 0A84853A
	v_mul_f32_e32 v67, v59, v67                                // 000000006458: 0A86873B
	buffer_atomic_add_f32 v147, v8, s[32:35], 0 offen offset:128// 00000000645C: E1341080 80089308
	v_mfma_f32_16x16x16_bf16 v[176:179], v[112:113], v[156:157], v[176:179]// 000000006464: D3E100B0 06C33970
	v_cmp_u_f32_e64 s[78:79], v64, v64                         // 00000000646C: D048004E 00028140
	v_bfe_u32 v208, v64, 16, 1                                 // 000000006474: D1C800D0 02052140
	v_add3_u32 v208, v64, v208, v211                           // 00000000647C: D1FF00D0 074FA140
	v_cndmask_b32_e64 v28, v208, v210, s[78:79]                // 000000006484: D100001C 013BA5D0
	v_lshrrev_b32_e32 v28, 16, v28                             // 00000000648C: 20383890
	v_cmp_u_f32_e64 s[78:79], v65, v65                         // 000000006490: D048004E 00028341
	v_bfe_u32 v208, v65, 16, 1                                 // 000000006498: D1C800D0 02052141
	v_add3_u32 v208, v65, v208, v211                           // 0000000064A0: D1FF00D0 074FA141
	v_cndmask_b32_e64 v29, v208, v210, s[78:79]                // 0000000064A8: D100001D 013BA5D0
	v_and_or_b32 v64, v29, v209, v28                           // 0000000064B0: D2010040 0473A31D
	v_mfma_f32_16x16x16_bf16 v[180:183], v[114:115], v[156:157], v[180:183]// 0000000064B8: D3E100B4 06D33972
	v_cmp_u_f32_e64 s[78:79], v66, v66                         // 0000000064C0: D048004E 00028542
	v_bfe_u32 v208, v66, 16, 1                                 // 0000000064C8: D1C800D0 02052142
	v_add3_u32 v208, v66, v208, v211                           // 0000000064D0: D1FF00D0 074FA142
	v_cndmask_b32_e64 v28, v208, v210, s[78:79]                // 0000000064D8: D100001C 013BA5D0
	v_lshrrev_b32_e32 v28, 16, v28                             // 0000000064E0: 20383890
	v_cmp_u_f32_e64 s[78:79], v67, v67                         // 0000000064E4: D048004E 00028743
	v_bfe_u32 v208, v67, 16, 1                                 // 0000000064EC: D1C800D0 02052143
	v_add3_u32 v208, v67, v208, v211                           // 0000000064F4: D1FF00D0 074FA143
	v_cndmask_b32_e64 v29, v208, v210, s[78:79]                // 0000000064FC: D100001D 013BA5D0
	v_and_or_b32 v65, v29, v209, v28                           // 000000006504: D2010041 0473A31D
	v_mfma_f32_16x16x16_bf16 v[184:187], v[116:117], v[156:157], v[184:187]// 00000000650C: D3E100B8 06E33974
	v_mov_b32_dpp v16, v64 quad_perm:[1,0,3,2] row_mask:0xf bank_mask:0xf// 000000006514: 7E2002FA FF00B140
	v_perm_b32 v56, v16, v64, v15                              // 00000000651C: D1ED0038 043E8110
	buffer_atomic_add_f32 v148, v7, s[32:35], 0 offen offset:256// 000000006524: E1341100 80089407
	v_mfma_f32_16x16x16_bf16 v[188:191], v[118:119], v[156:157], v[188:191]// 00000000652C: D3E100BC 06F33976
	v_mov_b32_dpp v16, v65 quad_perm:[1,0,3,2] row_mask:0xf bank_mask:0xf// 000000006534: 7E2002FA FF00B141
	v_perm_b32 v57, v16, v65, v15                              // 00000000653C: D1ED0039 043E8310
	buffer_atomic_add_f32 v149, v8, s[32:35], 0 offen offset:256// 000000006544: E1341100 80089508
	v_mfma_f32_16x16x16_bf16 v[192:195], v[120:121], v[156:157], v[192:195]// 00000000654C: D3E100C0 07033978
	ds_write_b32 v13, v68 offset:6528                          // 000000006554: D81A1980 0000440D
	ds_write_b32 v13, v69 offset:7584                          // 00000000655C: D81A1DA0 0000450D
	v_mfma_f32_16x16x16_bf16 v[196:199], v[122:123], v[156:157], v[196:199]// 000000006564: D3E100C4 0713397A
	ds_write_b32 v18, v56 offset:26112                         // 00000000656C: D81A6600 00003812
	ds_write_b32 v18, v57 offset:26656                         // 000000006574: D81A6820 00003912
	v_mfma_f32_16x16x16_bf16 v[200:203], v[124:125], v[156:157], v[200:203]// 00000000657C: D3E100C8 0723397C
	ds_write_b32 v13, v70 offset:8704                          // 000000006584: D81A2200 0000460D
	ds_write_b32 v13, v71 offset:9760                          // 00000000658C: D81A2620 0000470D
	v_mfma_f32_16x16x16_bf16 v[204:207], v[126:127], v[156:157], v[204:207]// 000000006594: D3E100CC 0733397E
	ds_write_b32 v13, v72 offset:10880                         // 00000000659C: D81A2A80 0000480D
	ds_write_b32 v13, v73 offset:11936                         // 0000000065A4: D81A2EA0 0000490D
	s_barrier                                                  // 0000000065AC: BF8A0000
	v_mfma_f32_16x16x16_bf16 a[96:99], a[72:73], v[64:65], a[96:99]// 0000000065B0: D3E18060 0D828148
	buffer_atomic_add_f32 v150, v7, s[32:35], 0 offen offset:384// 0000000065B8: E1341180 80089607
	buffer_atomic_add_f32 v151, v8, s[32:35], 0 offen offset:384// 0000000065C0: E1341180 80089708
	v_mfma_f32_16x16x16_bf16 a[100:103], a[74:75], v[64:65], a[100:103]// 0000000065C8: D3E18064 0D92814A
	ds_read_b32 v128, v21 offset:40704                         // 0000000065D0: D86C9F00 80000015
	ds_read_b32 v158, v21 offset:40960                         // 0000000065D8: D86CA000 9E000015
	v_mfma_f32_16x16x16_bf16 a[104:107], a[76:77], v[64:65], a[104:107]// 0000000065E0: D3E18068 0DA2814C
	s_waitcnt lgkmcnt(6)                                       // 0000000065E8: BF8CC67F
	s_barrier                                                  // 0000000065EC: BF8A0000
	v_mfma_f32_16x16x16_bf16 a[108:111], a[78:79], v[64:65], a[108:111]// 0000000065F0: D3E1806C 0DB2814E
	ds_read_b128 v[56:59], v17 offset:26112                    // 0000000065F8: D9FE6600 38000011
	v_mfma_f32_16x16x16_bf16 a[112:115], a[80:81], v[64:65], a[112:115]// 000000006600: D3E18070 0DC28150
	s_mov_b64 exec, s[94:95]                                   // 000000006608: BEFE015E
	buffer_atomic_add_f32 v152, v7, s[32:35], 0 offen offset:512// 00000000660C: E1341200 80089807
	s_mov_b32 exec_lo, -1                                      // 000000006614: BEFE00C1
	s_mov_b32 exec_hi, -1                                      // 000000006618: BEFF00C1
	v_mfma_f32_16x16x16_bf16 a[116:119], a[82:83], v[64:65], a[116:119]// 00000000661C: D3E18074 0DD28152
	ds_read_b128 v[60:63], v17 offset:27264                    // 000000006624: D9FE6A80 3C000011
	v_mfma_f32_16x16x16_bf16 a[120:123], a[84:85], v[64:65], a[120:123]// 00000000662C: D3E18078 0DE28154
	s_mov_b64 exec, s[94:95]                                   // 000000006634: BEFE015E
	buffer_atomic_add_f32 v153, v8, s[32:35], 0 offen offset:512// 000000006638: E1341200 80089908
	s_mov_b32 exec_lo, -1                                      // 000000006640: BEFE00C1
	s_mov_b32 exec_hi, -1                                      // 000000006644: BEFF00C1
	v_mfma_f32_16x16x16_bf16 a[124:127], a[86:87], v[64:65], a[124:127]// 000000006648: D3E1807C 0DF28156
	ds_write_b32 v13, v74 offset:19584                         // 000000006650: D81A4C80 00004A0D
	ds_write_b32 v13, v75 offset:20640                         // 000000006658: D81A50A0 00004B0D
	v_mfma_f32_16x16x16_bf16 a[128:131], a[88:89], v[64:65], a[128:131]// 000000006660: D3E18080 0E028158
	s_mov_b64 exec, s[96:97]                                   // 000000006668: BEFE0160
	buffer_atomic_add_f32 v154, v7, s[32:35], 0 offen offset:640// 00000000666C: E1341280 80089A07
	s_mov_b32 exec_lo, -1                                      // 000000006674: BEFE00C1
	s_mov_b32 exec_hi, -1                                      // 000000006678: BEFF00C1
	v_mfma_f32_16x16x16_bf16 a[132:135], a[90:91], v[64:65], a[132:135]// 00000000667C: D3E18084 0E12815A
	ds_write_b32 v13, v76 offset:21760                         // 000000006684: D81A5500 00004C0D
	ds_write_b32 v13, v77 offset:22816                         // 00000000668C: D81A5920 00004D0D
	v_mfma_f32_16x16x16_bf16 a[136:139], a[92:93], v[64:65], a[136:139]// 000000006694: D3E18088 0E22815C
	s_mov_b64 exec, s[96:97]                                   // 00000000669C: BEFE0160
	buffer_atomic_add_f32 v155, v8, s[32:35], 0 offen offset:640// 0000000066A0: E1341280 80089B08
	s_mov_b32 exec_lo, -1                                      // 0000000066A8: BEFE00C1
	s_mov_b32 exec_hi, -1                                      // 0000000066AC: BEFF00C1
	v_mfma_f32_16x16x16_bf16 a[140:143], a[94:95], v[64:65], a[140:143]// 0000000066B0: D3E1808C 0E32815E
	ds_write_b32 v13, v78 offset:23936                         // 0000000066B8: D81A5D80 00004E0D
	ds_write_b32 v13, v79 offset:24992                         // 0000000066C0: D81A61A0 00004F0D
	s_waitcnt vmcnt(12) lgkmcnt(6)                             // 0000000066C8: BF8C067C
	s_barrier                                                  // 0000000066CC: BF8A0000
	v_mfma_f32_16x16x16_bf16 v[132:135], v[56:57], a[24:25], 0 // 0000000066D0: D3E10084 12023138
	v_mul_f32_e32 v128, s48, v128                              // 0000000066D8: 0B010030
	v_perm_b32 v68, v39, v38, s63                              // 0000000066DC: D1ED0044 00FE4D27
	v_perm_b32 v69, v39, v38, s64                              // 0000000066E4: D1ED0045 01024D27
	v_perm_b32 v70, v41, v40, s63                              // 0000000066EC: D1ED0046 00FE5129
	v_mfma_f32_16x16x16_bf16 v[132:135], v[58:59], a[30:31], v[132:135]// 0000000066F4: D3E10084 16123D3A
	ds_read_b128 a[72:75], v10                                 // 0000000066FC: DBFE0000 4800000A
	ds_read_b128 a[76:79], v10 offset:512                      // 000000006704: DBFE0200 4C00000A
	ds_read_b128 a[80:83], v10 offset:2176                     // 00000000670C: DBFE0880 5000000A
	buffer_load_dword v32, v1, s[8:11], 0 idxen                // 000000006714: E0502000 80022001
	buffer_load_dword v33, v2, s[8:11], 0 idxen                // 00000000671C: E0502000 80022102
	v_mfma_f32_16x16x16_bf16 v[132:135], v[60:61], a[36:37], v[132:135]// 000000006724: D3E10084 1612493C
	v_perm_b32 v71, v41, v40, s64                              // 00000000672C: D1ED0047 01025129
	v_perm_b32 v72, v43, v42, s63                              // 000000006734: D1ED0048 00FE552B
	v_perm_b32 v73, v43, v42, s64                              // 00000000673C: D1ED0049 0102552B
	v_mfma_f32_16x16x16_bf16 v[132:135], v[62:63], a[42:43], v[132:135]// 000000006744: D3E10084 1612553E
	ds_read_b128 a[84:87], v10 offset:2688                     // 00000000674C: DBFE0A80 5400000A
	ds_read_b128 a[88:91], v10 offset:4352                     // 000000006754: DBFE1100 5800000A
	ds_read_b128 a[92:95], v10 offset:4864                     // 00000000675C: DBFE1300 5C00000A
	buffer_load_dword v34, v1, s[8:11], 0 idxen offset:128     // 000000006764: E0502080 80022201
	buffer_load_dword v35, v2, s[8:11], 0 idxen offset:128     // 00000000676C: E0502080 80022302
	v_mfma_f32_16x16x16_bf16 v[136:139], v[56:57], a[26:27], 0 // 000000006774: D3E10088 12023538
	v_perm_b32 v74, v51, v50, s63                              // 00000000677C: D1ED004A 00FE6533
	v_perm_b32 v75, v51, v50, s64                              // 000000006784: D1ED004B 01026533
	v_perm_b32 v76, v53, v52, s63                              // 00000000678C: D1ED004C 00FE6935
	v_mov_b32_dpp v131, v128 quad_perm:[3,3,3,3] row_mask:0xf bank_mask:0xf// 000000006794: 7F0602FA FF00FF80
	v_mov_b32_dpp v130, v128 quad_perm:[2,2,2,2] row_mask:0xf bank_mask:0xf// 00000000679C: 7F0402FA FF00AA80
	v_mfma_f32_16x16x16_bf16 v[136:139], v[58:59], a[32:33], v[136:139]// 0000000067A4: D3E10088 1622413A
	ds_read_b128 v[80:83], v10 offset:13056                    // 0000000067AC: D9FE3300 5000000A
	ds_read_b128 v[84:87], v10 offset:13568                    // 0000000067B4: D9FE3500 5400000A
	ds_read_b128 v[88:91], v10 offset:15232                    // 0000000067BC: D9FE3B80 5800000A
	buffer_load_dword v44, v212, s[20:23], 0 idxen             // 0000000067C4: E0502000 80052CD4
	buffer_load_dword v45, v213, s[20:23], 0 idxen             // 0000000067CC: E0502000 80052DD5
	v_mfma_f32_16x16x16_bf16 v[136:139], v[60:61], a[38:39], v[136:139]// 0000000067D4: D3E10088 16224D3C
	v_perm_b32 v77, v53, v52, s64                              // 0000000067DC: D1ED004D 01026935
	v_perm_b32 v78, v55, v54, s63                              // 0000000067E4: D1ED004E 00FE6D37
	v_perm_b32 v79, v55, v54, s64                              // 0000000067EC: D1ED004F 01026D37
	v_mov_b32_dpp v129, v128 quad_perm:[1,1,1,1] row_mask:0xf bank_mask:0xf// 0000000067F4: 7F0202FA FF005580
	v_mov_b32_dpp v128, v128 quad_perm:[0,0,0,0] row_mask:0xf bank_mask:0xf// 0000000067FC: 7F0002FA FF000080
	v_mfma_f32_16x16x16_bf16 v[136:139], v[62:63], a[44:45], v[136:139]// 000000006804: D3E10088 1622593E
	ds_read_b128 v[92:95], v10 offset:15744                    // 00000000680C: D9FE3D80 5C00000A
	ds_read_b128 v[96:99], v10 offset:17408                    // 000000006814: D9FE4400 6000000A
	ds_read_b128 v[100:103], v10 offset:17920                  // 00000000681C: D9FE4600 6400000A
	buffer_load_dword v46, v212, s[20:23], 0 idxen offset:128  // 000000006824: E0502080 80052ED4
	buffer_load_dword v47, v213, s[20:23], 0 idxen offset:128  // 00000000682C: E0502080 80052FD5
	v_mfma_f32_16x16x16_bf16 v[140:143], v[56:57], a[28:29], 0 // 000000006834: D3E1008C 12023938
	s_add_u32 s60, 64, s59                                     // 00000000683C: 803C3BC0
	s_cmp_lt_u32 s60, s58                                      // 000000006840: BF0A3A3C
	s_cselect_b32 s68, s68, 0                                  // 000000006844: 85448044
	s_cselect_b32 s99, s99, 0                                  // 000000006848: 85638063
	s_cselect_b32 s69, s69, 0                                  // 00000000684C: 85458045
	v_mfma_f32_16x16x16_bf16 v[140:143], v[58:59], a[34:35], v[140:143]// 000000006850: D3E1008C 1632453A
	buffer_load_dword v9, s[24:27], 0 idxen lds                // 000000006858: E0512000 80060009
	v_mov_b32_e32 v36, 0                                       // 000000006860: 7E480280
	s_mov_b64 exec, s[90:91]                                   // 000000006864: BEFE015A
	buffer_load_dword v36, v1, s[8:11], 0 idxen offset:256     // 000000006868: E0502100 80022401
	s_mov_b32 exec_lo, -1                                      // 000000006870: BEFE00C1
	s_mov_b32 exec_hi, -1                                      // 000000006874: BEFF00C1
	v_mov_b32_e32 v37, 0                                       // 000000006878: 7E4A0280
	s_mov_b64 exec, s[90:91]                                   // 00000000687C: BEFE015A
	buffer_load_dword v37, v2, s[8:11], 0 idxen offset:256     // 000000006880: E0502100 80022502
	s_mov_b32 exec_lo, -1                                      // 000000006888: BEFE00C1
	s_mov_b32 exec_hi, -1                                      // 00000000688C: BEFF00C1
	v_mfma_f32_16x16x16_bf16 v[140:143], v[60:61], a[40:41], v[140:143]// 000000006890: D3E1008C 1632513C
	v_mov_b32_e32 v48, 0                                       // 000000006898: 7E600280
	s_mov_b64 exec, s[90:91]                                   // 00000000689C: BEFE015A
	buffer_load_dword v48, v212, s[20:23], 0 idxen offset:256  // 0000000068A0: E0502100 800530D4
	s_mov_b32 exec_lo, -1                                      // 0000000068A8: BEFE00C1
	s_mov_b32 exec_hi, -1                                      // 0000000068AC: BEFF00C1
	v_mov_b32_e32 v49, 0                                       // 0000000068B0: 7E620280
	s_mov_b64 exec, s[90:91]                                   // 0000000068B4: BEFE015A
	buffer_load_dword v49, v213, s[20:23], 0 idxen offset:256  // 0000000068B8: E0502100 800531D5
	s_mov_b32 exec_lo, -1                                      // 0000000068C0: BEFE00C1
	s_mov_b32 exec_hi, -1                                      // 0000000068C4: BEFF00C1
	v_add_u32_e32 v1, s68, v1                                  // 0000000068C8: 68020244
	v_add_u32_e32 v2, s68, v2                                  // 0000000068CC: 68040444
	v_add_u32_e32 v212, s99, v212                              // 0000000068D0: 69A9A863
	v_add_u32_e32 v213, s99, v213                              // 0000000068D4: 69ABAA63
	s_mov_b32 m0, s81                                          // 0000000068D8: BEFC0051
	v_add_u32_e32 v9, s69, v9                                  // 0000000068DC: 68121245
	v_mfma_f32_16x16x16_bf16 v[140:143], v[62:63], a[46:47], v[140:143]// 0000000068E0: D3E1008C 16325D3E
	s_cmp_ge_u32 s59, s73                                      // 0000000068E8: BF09493B
	s_cselect_b32 s66, s67, s66                                // 0000000068EC: 85424243
	s_addk_i32 s59, 0x10                                       // 0000000068F0: B73B0010
	s_nop 0                                                    // 0000000068F4: BF800000
	s_cmp_lt_i32 s59, s58                                      // 0000000068F8: BF043A3B
	s_cbranch_scc0 label_0AC1                                  // 0000000068FC: BF840001
	s_branch label_0642                                        // 000000006900: BF82FB81

0000000000006904 <label_0AC1>:
	s_nop 0                                                    // 000000006904: BF800000
	s_nop 0                                                    // 000000006908: BF800000
	s_branch label_0F43                                        // 00000000690C: BF82047F

0000000000006910 <label_0AC4>:
	s_waitcnt lgkmcnt(0)                                       // 000000006910: BF8CC07F
	s_barrier                                                  // 000000006914: BF8A0000
	v_mfma_f32_16x16x16_bf16 v[56:59], a[72:73], a[0:1], 0     // 000000006918: D3E10038 1A020148
	v_mul_f32_e32 v132, s47, v132                              // 000000006920: 0B09082F
	v_mul_f32_e32 v133, s47, v133                              // 000000006924: 0B0B0A2F
	v_mul_f32_e32 v134, s47, v134                              // 000000006928: 0B0D0C2F
	v_mul_f32_e32 v135, s47, v135                              // 00000000692C: 0B0F0E2F
	v_mfma_f32_16x16x16_bf16 v[56:59], a[74:75], a[2:3], v[56:59]// 000000006930: D3E10038 1CE2054A
	ds_write_b32 v11, v50 offset:13056                         // 000000006938: D81A3300 0000320B
	ds_write_b32 v11, v51 offset:14112                         // 000000006940: D81A3720 0000330B
	ds_write_b32 v11, v52 offset:15232                         // 000000006948: D81A3B80 0000340B
	v_mfma_f32_16x16x16_bf16 v[56:59], a[76:77], a[4:5], v[56:59]// 000000006950: D3E10038 1CE2094C
	v_mul_f32_e32 v136, s47, v136                              // 000000006958: 0B11102F
	v_mul_f32_e32 v137, s47, v137                              // 00000000695C: 0B13122F
	v_mul_f32_e32 v138, s47, v138                              // 000000006960: 0B15142F
	v_mul_f32_e32 v139, s47, v139                              // 000000006964: 0B17162F
	v_mfma_f32_16x16x16_bf16 v[56:59], a[78:79], a[6:7], v[56:59]// 000000006968: D3E10038 1CE20D4E
	ds_write_b32 v11, v53 offset:16288                         // 000000006970: D81A3FA0 0000350B
	ds_write_b32 v11, v54 offset:17408                         // 000000006978: D81A4400 0000360B
	ds_write_b32 v11, v55 offset:18464                         // 000000006980: D81A4820 0000370B
	v_mfma_f32_16x16x16_bf16 v[56:59], a[80:81], a[8:9], v[56:59]// 000000006988: D3E10038 1CE21150
	v_mul_f32_e32 v140, s47, v140                              // 000000006990: 0B19182F
	v_mul_f32_e32 v141, s47, v141                              // 000000006994: 0B1B1A2F
	v_mul_f32_e32 v142, s47, v142                              // 000000006998: 0B1D1C2F
	v_mul_f32_e32 v143, s47, v143                              // 00000000699C: 0B1F1E2F
	v_mfma_f32_16x16x16_bf16 v[56:59], a[82:83], a[10:11], v[56:59]// 0000000069A0: D3E10038 1CE21552
	ds_write_b64 v20, v[132:133] offset:28416                  // 0000000069A8: D89A6F00 00008414
	ds_write_b64 v20, v[134:135] offset:28928                  // 0000000069B0: D89A7100 00008614
	v_mfma_f32_16x16x16_bf16 v[56:59], a[84:85], a[12:13], v[56:59]// 0000000069B8: D3E10038 1CE21954
	ds_write_b64 v20, v[136:137] offset:29440                  // 0000000069C0: D89A7300 00008814
	ds_write_b64 v20, v[138:139] offset:29952                  // 0000000069C8: D89A7500 00008A14
	v_mfma_f32_16x16x16_bf16 v[56:59], a[86:87], a[14:15], v[56:59]// 0000000069D0: D3E10038 1CE21D56
	ds_write_b64 v20, v[140:141] offset:30464                  // 0000000069D8: D89A7700 00008C14
	ds_write_b64 v20, v[142:143] offset:30976                  // 0000000069E0: D89A7900 00008E14
	v_mfma_f32_16x16x16_bf16 v[56:59], a[88:89], a[16:17], v[56:59]// 0000000069E8: D3E10038 1CE22158
	ds_read_b128 v[104:107], v12 offset:19584                  // 0000000069F0: D9FE4C80 6800000C
	v_mfma_f32_16x16x16_bf16 v[56:59], a[90:91], a[18:19], v[56:59]// 0000000069F8: D3E10038 1CE2255A
	ds_read_b128 v[108:111], v12 offset:20096                  // 000000006A00: D9FE4E80 6C00000C
	v_mfma_f32_16x16x16_bf16 v[56:59], a[92:93], a[20:21], v[56:59]// 000000006A08: D3E10038 1CE2295C
	ds_read_b128 v[112:115], v12 offset:21760                  // 000000006A10: D9FE5500 7000000C
	ds_read_b128 v[116:119], v12 offset:22272                  // 000000006A18: D9FE5700 7400000C
	v_mfma_f32_16x16x16_bf16 v[56:59], a[94:95], a[22:23], v[56:59]// 000000006A20: D3E10038 1CE22D5E
	ds_read_b128 v[120:123], v12 offset:23936                  // 000000006A28: D9FE5D80 7800000C
	ds_read_b128 v[124:127], v12 offset:24448                  // 000000006A30: D9FE5F80 7C00000C
	s_cmp_lt_i32 s74, 4                                        // 000000006A38: BF04844A
	s_cbranch_scc0 label_0B3A                                  // 000000006A3C: BF84002A
	s_mov_b32 s60, 0xffe0fffe                                  // 000000006A40: BEBC00FF FFE0FFFE
	s_mov_b32 s61, 0xe000fe00                                  // 000000006A48: BEBD00FF E000FE00
	s_nop 0                                                    // 000000006A50: BF800000
	s_cmp_lt_i32 s74, s46                                      // 000000006A54: BF042E4A
	s_cbranch_scc1 label_0B35                                  // 000000006A58: BF85001E
	s_cmp_eq_i32 s74, s46                                      // 000000006A5C: BF002E4A
	s_cbranch_scc1 label_0B1A                                  // 000000006A60: BF850001
	s_branch label_0B3A                                        // 000000006A64: BF820020

0000000000006a68 <label_0B1A>:
	v_cndmask_b32_e64 v56, v56, v159, s[60:61]                 // 000000006A68: D1000038 00F33F38
	s_lshl_b32 s60, s60, 1                                     // 000000006A70: 8E3C813C
	s_lshl_b32 s61, s61, 1                                     // 000000006A74: 8E3D813D
	s_and_b32 s60, 0xfffeffff, s60                             // 000000006A78: 863C3CFF FFFEFFFF
	s_and_b32 s61, 0xfffeffff, s61                             // 000000006A80: 863D3DFF FFFEFFFF
	v_cndmask_b32_e64 v57, v57, v159, s[60:61]                 // 000000006A88: D1000039 00F33F39
	s_lshl_b32 s60, s60, 1                                     // 000000006A90: 8E3C813C
	s_lshl_b32 s61, s61, 1                                     // 000000006A94: 8E3D813D
	s_and_b32 s60, 0xfffeffff, s60                             // 000000006A98: 863C3CFF FFFEFFFF
	s_and_b32 s61, 0xfffeffff, s61                             // 000000006AA0: 863D3DFF FFFEFFFF
	v_cndmask_b32_e64 v58, v58, v159, s[60:61]                 // 000000006AA8: D100003A 00F33F3A
	s_lshl_b32 s60, s60, 1                                     // 000000006AB0: 8E3C813C
	s_lshl_b32 s61, s61, 1                                     // 000000006AB4: 8E3D813D
	s_and_b32 s60, 0xfffeffff, s60                             // 000000006AB8: 863C3CFF FFFEFFFF
	s_and_b32 s61, 0xfffeffff, s61                             // 000000006AC0: 863D3DFF FFFEFFFF
	v_cndmask_b32_e64 v59, v59, v159, s[60:61]                 // 000000006AC8: D100003B 00F33F3B
	s_branch label_0B3A                                        // 000000006AD0: BF820005

0000000000006ad4 <label_0B35>:
	v_mov_b32_e32 v56, v159                                    // 000000006AD4: 7E70039F
	v_mov_b32_e32 v57, v159                                    // 000000006AD8: 7E72039F
	v_mov_b32_e32 v58, v159                                    // 000000006ADC: 7E74039F
	v_mov_b32_e32 v59, v159                                    // 000000006AE0: 7E76039F
	s_branch label_0B3A                                        // 000000006AE4: BF820000

0000000000006ae8 <label_0B3A>:
	s_cmp_lt_i32 s100, 64                                      // 000000006AE8: BF04C064
	s_cbranch_scc0 label_0B4B                                  // 000000006AEC: BF84000F
	v_and_b32_e32 v28, 15, v0                                  // 000000006AF0: 2638008F
	v_mul_i32_i24_e64 v29, s46, 16                             // 000000006AF4: D106001D 0001202E
	v_add_u32_e32 v28, v28, v29                                // 000000006AFC: 68383B1C
	v_cmp_lt_u32_e64 s[60:61], v28, s100                       // 000000006B00: D0C9003C 0000C91C
	s_nop 1                                                    // 000000006B08: BF800001
	v_cndmask_b32_e64 v56, v159, v56, s[60:61]                 // 000000006B0C: D1000038 00F2719F
	v_cndmask_b32_e64 v57, v159, v57, s[60:61]                 // 000000006B14: D1000039 00F2739F
	v_cndmask_b32_e64 v58, v159, v58, s[60:61]                 // 000000006B1C: D100003A 00F2759F
	v_cndmask_b32_e64 v59, v159, v59, s[60:61]                 // 000000006B24: D100003B 00F2779F

0000000000006b2c <label_0B4B>:
	s_addk_i32 s74, 0x1                                        // 000000006B2C: B74A0001
	s_waitcnt lgkmcnt(6)                                       // 000000006B30: BF8CC67F
	s_barrier                                                  // 000000006B34: BF8A0000
	v_mfma_f32_16x16x16_bf16 v[64:67], v[80:81], a[48:49], 0   // 000000006B38: D3E10040 12026150
	v_fma_f32 v56, v56, s57, -v128                             // 000000006B40: D1CB0038 86007338
	v_fma_f32 v57, v57, s57, -v129                             // 000000006B48: D1CB0039 86047339
	v_fma_f32 v58, v58, s57, -v130                             // 000000006B50: D1CB003A 8608733A
	v_fma_f32 v59, v59, s57, -v131                             // 000000006B58: D1CB003B 860C733B
	v_mfma_f32_16x16x16_bf16 v[64:67], v[82:83], a[50:51], v[64:67]// 000000006B60: D3E10040 15026552
	ds_read_b128 a[72:75], v12 offset:6528                     // 000000006B68: DBFE1980 4800000C
	ds_read_b128 a[76:79], v12 offset:7040                     // 000000006B70: DBFE1B80 4C00000C
	ds_write_b32 v11, v38                                      // 000000006B78: D81A0000 0000260B
	ds_write_b32 v11, v39 offset:1056                          // 000000006B80: D81A0420 0000270B
	v_mfma_f32_16x16x16_bf16 v[64:67], v[84:85], a[52:53], v[64:67]// 000000006B88: D3E10040 15026954
	v_exp_f32_e32 v56, v56                                     // 000000006B90: 7E704138
	v_mfma_f32_16x16x16_bf16 v[64:67], v[86:87], a[54:55], v[64:67]// 000000006B94: D3E10040 15026D56
	ds_read_b128 a[80:83], v12 offset:8704                     // 000000006B9C: DBFE2200 5000000C
	ds_read_b128 a[84:87], v12 offset:9216                     // 000000006BA4: DBFE2400 5400000C
	ds_write_b32 v11, v40 offset:2176                          // 000000006BAC: D81A0880 0000280B
	v_mfma_f32_16x16x16_bf16 v[64:67], v[88:89], a[56:57], v[64:67]// 000000006BB4: D3E10040 15027158
	v_exp_f32_e32 v57, v57                                     // 000000006BBC: 7E724139
	v_mfma_f32_16x16x16_bf16 v[64:67], v[90:91], a[58:59], v[64:67]// 000000006BC0: D3E10040 1502755A
	ds_read_b128 a[88:91], v12 offset:10880                    // 000000006BC8: DBFE2A80 5800000C
	ds_read_b128 a[92:95], v12 offset:11392                    // 000000006BD0: DBFE2C80 5C00000C
	ds_write_b32 v11, v41 offset:3232                          // 000000006BD8: D81A0CA0 0000290B
	v_mfma_f32_16x16x16_bf16 v[64:67], v[92:93], a[60:61], v[64:67]// 000000006BE0: D3E10040 1502795C
	v_exp_f32_e32 v58, v58                                     // 000000006BE8: 7E74413A
	v_mfma_f32_16x16x16_bf16 v[64:67], v[94:95], a[62:63], v[64:67]// 000000006BEC: D3E10040 15027D5E
	ds_read_b64 v[144:145], v19 offset:28416                   // 000000006BF4: D8EC6F00 90000013
	ds_read_b64 v[146:147], v19 offset:30464                   // 000000006BFC: D8EC7700 92000013
	ds_read_b64 v[148:149], v19 offset:32512                   // 000000006C04: D8EC7F00 94000013
	ds_write_b32 v11, v42 offset:4352                          // 000000006C0C: D81A1100 00002A0B
	v_mfma_f32_16x16x16_bf16 v[64:67], v[96:97], a[64:65], v[64:67]// 000000006C14: D3E10040 15028160
	v_exp_f32_e32 v59, v59                                     // 000000006C1C: 7E76413B
	v_mfma_f32_16x16x16_bf16 v[64:67], v[98:99], a[66:67], v[64:67]// 000000006C20: D3E10040 15028562
	ds_read_b64 v[150:151], v19 offset:34560                   // 000000006C28: D8EC8700 96000013
	ds_read_b64 v[152:153], v19 offset:36608                   // 000000006C30: D8EC8F00 98000013
	ds_read_b64 v[154:155], v19 offset:38656                   // 000000006C38: D8EC9700 9A000013
	ds_write_b32 v11, v43 offset:5408                          // 000000006C40: D81A1520 00002B0B
	v_mfma_f32_16x16x16_bf16 v[64:67], v[100:101], a[68:69], v[64:67]// 000000006C48: D3E10040 15028964
	v_cmp_u_f32_e64 s[78:79], v56, v56                         // 000000006C50: D048004E 00027138
	v_bfe_u32 v208, v56, 16, 1                                 // 000000006C58: D1C800D0 02052138
	v_add3_u32 v208, v56, v208, v211                           // 000000006C60: D1FF00D0 074FA138
	v_cndmask_b32_e64 v28, v208, v210, s[78:79]                // 000000006C68: D100001C 013BA5D0
	v_lshrrev_b32_e32 v28, 16, v28                             // 000000006C70: 20383890
	v_cmp_u_f32_e64 s[78:79], v57, v57                         // 000000006C74: D048004E 00027339
	v_bfe_u32 v208, v57, 16, 1                                 // 000000006C7C: D1C800D0 02052139
	v_add3_u32 v208, v57, v208, v211                           // 000000006C84: D1FF00D0 074FA139
	v_cndmask_b32_e64 v29, v208, v210, s[78:79]                // 000000006C8C: D100001D 013BA5D0
	v_and_or_b32 v156, v29, v209, v28                          // 000000006C94: D201009C 0473A31D
	v_mfma_f32_16x16x16_bf16 v[64:67], v[102:103], a[70:71], v[64:67]// 000000006C9C: D3E10040 15028D66
	v_cmp_u_f32_e64 s[78:79], v58, v58                         // 000000006CA4: D048004E 0002753A
	v_bfe_u32 v208, v58, 16, 1                                 // 000000006CAC: D1C800D0 0205213A
	v_add3_u32 v208, v58, v208, v211                           // 000000006CB4: D1FF00D0 074FA13A
	v_cndmask_b32_e64 v28, v208, v210, s[78:79]                // 000000006CBC: D100001C 013BA5D0
	v_lshrrev_b32_e32 v28, 16, v28                             // 000000006CC4: 20383890
	v_cmp_u_f32_e64 s[78:79], v59, v59                         // 000000006CC8: D048004E 0002773B
	v_bfe_u32 v208, v59, 16, 1                                 // 000000006CD0: D1C800D0 0205213B
	v_add3_u32 v208, v59, v208, v211                           // 000000006CD8: D1FF00D0 074FA13B
	v_cndmask_b32_e64 v29, v208, v210, s[78:79]                // 000000006CE0: D100001D 013BA5D0
	v_and_or_b32 v157, v29, v209, v28                          // 000000006CE8: D201009D 0473A31D
	v_add_u32_e32 v7, s66, v7                                  // 000000006CF0: 680E0E42
	v_add_u32_e32 v8, s66, v8                                  // 000000006CF4: 68101042
	s_waitcnt lgkmcnt(0)                                       // 000000006CF8: BF8CC07F
	s_barrier                                                  // 000000006CFC: BF8A0000
	v_mfma_f32_16x16x16_bf16 v[160:163], v[104:105], v[156:157], v[160:163]// 000000006D00: D3E100A0 06833968
	v_subrev_f32_dpp v64, v158, v64 quad_perm:[0,0,0,0] row_mask:0xf bank_mask:0xf// 000000006D08: 068080FA FF00009E
	v_subrev_f32_dpp v65, v158, v65 quad_perm:[1,1,1,1] row_mask:0xf bank_mask:0xf// 000000006D10: 068282FA FF00559E
	buffer_atomic_add_f32 v144, v7, s[32:35], 0 offen          // 000000006D18: E1341000 80089007
	v_mfma_f32_16x16x16_bf16 v[164:167], v[106:107], v[156:157], v[164:167]// 000000006D20: D3E100A4 0693396A
	v_subrev_f32_dpp v66, v158, v66 quad_perm:[2,2,2,2] row_mask:0xf bank_mask:0xf// 000000006D28: 068484FA FF00AA9E
	v_subrev_f32_dpp v67, v158, v67 quad_perm:[3,3,3,3] row_mask:0xf bank_mask:0xf// 000000006D30: 068686FA FF00FF9E
	buffer_atomic_add_f32 v145, v8, s[32:35], 0 offen          // 000000006D38: E1341000 80089108
	v_mfma_f32_16x16x16_bf16 v[168:171], v[108:109], v[156:157], v[168:171]// 000000006D40: D3E100A8 06A3396C
	v_mul_f32_e32 v64, v56, v64                                // 000000006D48: 0A808138
	v_mul_f32_e32 v65, v57, v65                                // 000000006D4C: 0A828339
	buffer_atomic_add_f32 v146, v7, s[32:35], 0 offen offset:128// 000000006D50: E1341080 80089207
	v_mfma_f32_16x16x16_bf16 v[172:175], v[110:111], v[156:157], v[172:175]// 000000006D58: D3E100AC 06B3396E
	v_mul_f32_e32 v66, v58, v66                                // 000000006D60: 0A84853A
	v_mul_f32_e32 v67, v59, v67                                // 000000006D64: 0A86873B
	buffer_atomic_add_f32 v147, v8, s[32:35], 0 offen offset:128// 000000006D68: E1341080 80089308
	v_mfma_f32_16x16x16_bf16 v[176:179], v[112:113], v[156:157], v[176:179]// 000000006D70: D3E100B0 06C33970
	v_cmp_u_f32_e64 s[78:79], v64, v64                         // 000000006D78: D048004E 00028140
	v_bfe_u32 v208, v64, 16, 1                                 // 000000006D80: D1C800D0 02052140
	v_add3_u32 v208, v64, v208, v211                           // 000000006D88: D1FF00D0 074FA140
	v_cndmask_b32_e64 v28, v208, v210, s[78:79]                // 000000006D90: D100001C 013BA5D0
	v_lshrrev_b32_e32 v28, 16, v28                             // 000000006D98: 20383890
	v_cmp_u_f32_e64 s[78:79], v65, v65                         // 000000006D9C: D048004E 00028341
	v_bfe_u32 v208, v65, 16, 1                                 // 000000006DA4: D1C800D0 02052141
	v_add3_u32 v208, v65, v208, v211                           // 000000006DAC: D1FF00D0 074FA141
	v_cndmask_b32_e64 v29, v208, v210, s[78:79]                // 000000006DB4: D100001D 013BA5D0
	v_and_or_b32 v64, v29, v209, v28                           // 000000006DBC: D2010040 0473A31D
	v_mfma_f32_16x16x16_bf16 v[180:183], v[114:115], v[156:157], v[180:183]// 000000006DC4: D3E100B4 06D33972
	v_cmp_u_f32_e64 s[78:79], v66, v66                         // 000000006DCC: D048004E 00028542
	v_bfe_u32 v208, v66, 16, 1                                 // 000000006DD4: D1C800D0 02052142
	v_add3_u32 v208, v66, v208, v211                           // 000000006DDC: D1FF00D0 074FA142
	v_cndmask_b32_e64 v28, v208, v210, s[78:79]                // 000000006DE4: D100001C 013BA5D0
	v_lshrrev_b32_e32 v28, 16, v28                             // 000000006DEC: 20383890
	v_cmp_u_f32_e64 s[78:79], v67, v67                         // 000000006DF0: D048004E 00028743
	v_bfe_u32 v208, v67, 16, 1                                 // 000000006DF8: D1C800D0 02052143
	v_add3_u32 v208, v67, v208, v211                           // 000000006E00: D1FF00D0 074FA143
	v_cndmask_b32_e64 v29, v208, v210, s[78:79]                // 000000006E08: D100001D 013BA5D0
	v_and_or_b32 v65, v29, v209, v28                           // 000000006E10: D2010041 0473A31D
	v_mfma_f32_16x16x16_bf16 v[184:187], v[116:117], v[156:157], v[184:187]// 000000006E18: D3E100B8 06E33974
	v_mov_b32_dpp v16, v64 quad_perm:[1,0,3,2] row_mask:0xf bank_mask:0xf// 000000006E20: 7E2002FA FF00B140
	v_perm_b32 v56, v16, v64, v15                              // 000000006E28: D1ED0038 043E8110
	buffer_atomic_add_f32 v148, v7, s[32:35], 0 offen offset:256// 000000006E30: E1341100 80089407
	v_mfma_f32_16x16x16_bf16 v[188:191], v[118:119], v[156:157], v[188:191]// 000000006E38: D3E100BC 06F33976
	v_mov_b32_dpp v16, v65 quad_perm:[1,0,3,2] row_mask:0xf bank_mask:0xf// 000000006E40: 7E2002FA FF00B141
	v_perm_b32 v57, v16, v65, v15                              // 000000006E48: D1ED0039 043E8310
	buffer_atomic_add_f32 v149, v8, s[32:35], 0 offen offset:256// 000000006E50: E1341100 80089508
	v_mfma_f32_16x16x16_bf16 v[192:195], v[120:121], v[156:157], v[192:195]// 000000006E58: D3E100C0 07033978
	ds_write_b32 v13, v68 offset:6528                          // 000000006E60: D81A1980 0000440D
	ds_write_b32 v13, v69 offset:7584                          // 000000006E68: D81A1DA0 0000450D
	v_mfma_f32_16x16x16_bf16 v[196:199], v[122:123], v[156:157], v[196:199]// 000000006E70: D3E100C4 0713397A
	ds_write_b32 v18, v56 offset:26112                         // 000000006E78: D81A6600 00003812
	ds_write_b32 v18, v57 offset:26656                         // 000000006E80: D81A6820 00003912
	v_mfma_f32_16x16x16_bf16 v[200:203], v[124:125], v[156:157], v[200:203]// 000000006E88: D3E100C8 0723397C
	ds_write_b32 v13, v70 offset:8704                          // 000000006E90: D81A2200 0000460D
	ds_write_b32 v13, v71 offset:9760                          // 000000006E98: D81A2620 0000470D
	v_mfma_f32_16x16x16_bf16 v[204:207], v[126:127], v[156:157], v[204:207]// 000000006EA0: D3E100CC 0733397E
	ds_write_b32 v13, v72 offset:10880                         // 000000006EA8: D81A2A80 0000480D
	ds_write_b32 v13, v73 offset:11936                         // 000000006EB0: D81A2EA0 0000490D
	s_barrier                                                  // 000000006EB8: BF8A0000
	v_mfma_f32_16x16x16_bf16 a[96:99], a[72:73], v[64:65], a[96:99]// 000000006EBC: D3E18060 0D828148
	ds_read_b32 v128, v21 offset:41216                         // 000000006EC4: D86CA100 80000015
	ds_read_b32 v158, v21 offset:41472                         // 000000006ECC: D86CA200 9E000015
	v_mfma_f32_16x16x16_bf16 a[100:103], a[74:75], v[64:65], a[100:103]// 000000006ED4: D3E18064 0D92814A
	buffer_atomic_add_f32 v150, v7, s[32:35], 0 offen offset:384// 000000006EDC: E1341180 80089607
	buffer_atomic_add_f32 v151, v8, s[32:35], 0 offen offset:384// 000000006EE4: E1341180 80089708
	v_mfma_f32_16x16x16_bf16 a[104:107], a[76:77], v[64:65], a[104:107]// 000000006EEC: D3E18068 0DA2814C
	s_waitcnt lgkmcnt(6)                                       // 000000006EF4: BF8CC67F
	s_barrier                                                  // 000000006EF8: BF8A0000
	v_mfma_f32_16x16x16_bf16 a[108:111], a[78:79], v[64:65], a[108:111]// 000000006EFC: D3E1806C 0DB2814E
	s_mov_b64 exec, s[94:95]                                   // 000000006F04: BEFE015E
	buffer_atomic_add_f32 v152, v7, s[32:35], 0 offen offset:512// 000000006F08: E1341200 80089807
	s_mov_b32 exec_lo, -1                                      // 000000006F10: BEFE00C1
	s_mov_b32 exec_hi, -1                                      // 000000006F14: BEFF00C1
	v_mfma_f32_16x16x16_bf16 a[112:115], a[80:81], v[64:65], a[112:115]// 000000006F18: D3E18070 0DC28150
	ds_read_b128 v[56:59], v17 offset:26112                    // 000000006F20: D9FE6600 38000011
	v_mfma_f32_16x16x16_bf16 a[116:119], a[82:83], v[64:65], a[116:119]// 000000006F28: D3E18074 0DD28152
	s_mov_b64 exec, s[94:95]                                   // 000000006F30: BEFE015E
	buffer_atomic_add_f32 v153, v8, s[32:35], 0 offen offset:512// 000000006F34: E1341200 80089908
	s_mov_b32 exec_lo, -1                                      // 000000006F3C: BEFE00C1
	s_mov_b32 exec_hi, -1                                      // 000000006F40: BEFF00C1
	v_mfma_f32_16x16x16_bf16 a[120:123], a[84:85], v[64:65], a[120:123]// 000000006F44: D3E18078 0DE28154
	ds_read_b128 v[60:63], v17 offset:27264                    // 000000006F4C: D9FE6A80 3C000011
	v_mfma_f32_16x16x16_bf16 a[124:127], a[86:87], v[64:65], a[124:127]// 000000006F54: D3E1807C 0DF28156
	s_mov_b64 exec, s[96:97]                                   // 000000006F5C: BEFE0160
	buffer_atomic_add_f32 v154, v7, s[32:35], 0 offen offset:640// 000000006F60: E1341280 80089A07
	s_mov_b32 exec_lo, -1                                      // 000000006F68: BEFE00C1
	s_mov_b32 exec_hi, -1                                      // 000000006F6C: BEFF00C1
	v_mfma_f32_16x16x16_bf16 a[128:131], a[88:89], v[64:65], a[128:131]// 000000006F70: D3E18080 0E028158
	ds_write_b32 v13, v74 offset:19584                         // 000000006F78: D81A4C80 00004A0D
	ds_write_b32 v13, v75 offset:20640                         // 000000006F80: D81A50A0 00004B0D
	v_mfma_f32_16x16x16_bf16 a[132:135], a[90:91], v[64:65], a[132:135]// 000000006F88: D3E18084 0E12815A
	s_mov_b64 exec, s[96:97]                                   // 000000006F90: BEFE0160
	buffer_atomic_add_f32 v155, v8, s[32:35], 0 offen offset:640// 000000006F94: E1341280 80089B08
	s_mov_b32 exec_lo, -1                                      // 000000006F9C: BEFE00C1
	s_mov_b32 exec_hi, -1                                      // 000000006FA0: BEFF00C1
	v_mfma_f32_16x16x16_bf16 a[136:139], a[92:93], v[64:65], a[136:139]// 000000006FA4: D3E18088 0E22815C
	ds_write_b32 v13, v76 offset:21760                         // 000000006FAC: D81A5500 00004C0D
	ds_write_b32 v13, v77 offset:22816                         // 000000006FB4: D81A5920 00004D0D
	v_mfma_f32_16x16x16_bf16 a[140:143], a[94:95], v[64:65], a[140:143]// 000000006FBC: D3E1808C 0E32815E
	ds_write_b32 v13, v78 offset:23936                         // 000000006FC4: D81A5D80 00004E0D
	ds_write_b32 v13, v79 offset:24992                         // 000000006FCC: D81A61A0 00004F0D
	s_waitcnt vmcnt(12) lgkmcnt(6)                             // 000000006FD4: BF8C067C
	s_barrier                                                  // 000000006FD8: BF8A0000
	v_mfma_f32_16x16x16_bf16 v[132:135], v[56:57], a[24:25], 0 // 000000006FDC: D3E10084 12023138
	ds_read_b128 a[72:75], v10                                 // 000000006FE4: DBFE0000 4800000A
	ds_read_b128 a[76:79], v10 offset:512                      // 000000006FEC: DBFE0200 4C00000A
	ds_read_b128 a[80:83], v10 offset:2176                     // 000000006FF4: DBFE0880 5000000A
	buffer_load_dword v38, v1, s[8:11], 0 idxen                // 000000006FFC: E0502000 80022601
	buffer_load_dword v39, v2, s[8:11], 0 idxen                // 000000007004: E0502000 80022702
	v_mfma_f32_16x16x16_bf16 v[132:135], v[58:59], a[30:31], v[132:135]// 00000000700C: D3E10084 16123D3A
	v_mul_f32_e32 v128, s48, v128                              // 000000007014: 0B010030
	v_perm_b32 v68, v33, v32, s63                              // 000000007018: D1ED0044 00FE4121
	v_perm_b32 v69, v33, v32, s64                              // 000000007020: D1ED0045 01024121
	v_perm_b32 v70, v35, v34, s63                              // 000000007028: D1ED0046 00FE4523
	v_mfma_f32_16x16x16_bf16 v[132:135], v[60:61], a[36:37], v[132:135]// 000000007030: D3E10084 1612493C
	ds_read_b128 a[84:87], v10 offset:2688                     // 000000007038: DBFE0A80 5400000A
	ds_read_b128 a[88:91], v10 offset:4352                     // 000000007040: DBFE1100 5800000A
	ds_read_b128 a[92:95], v10 offset:4864                     // 000000007048: DBFE1300 5C00000A
	buffer_load_dword v40, v1, s[8:11], 0 idxen offset:128     // 000000007050: E0502080 80022801
	buffer_load_dword v41, v2, s[8:11], 0 idxen offset:128     // 000000007058: E0502080 80022902
	v_mfma_f32_16x16x16_bf16 v[132:135], v[62:63], a[42:43], v[132:135]// 000000007060: D3E10084 1612553E
	v_perm_b32 v71, v35, v34, s64                              // 000000007068: D1ED0047 01024523
	v_perm_b32 v72, v37, v36, s63                              // 000000007070: D1ED0048 00FE4925
	v_perm_b32 v73, v37, v36, s64                              // 000000007078: D1ED0049 01024925
	v_mfma_f32_16x16x16_bf16 v[136:139], v[56:57], a[26:27], 0 // 000000007080: D3E10088 12023538
	ds_read_b128 v[80:83], v10 offset:13056                    // 000000007088: D9FE3300 5000000A
	ds_read_b128 v[84:87], v10 offset:13568                    // 000000007090: D9FE3500 5400000A
	ds_read_b128 v[88:91], v10 offset:15232                    // 000000007098: D9FE3B80 5800000A
	buffer_load_dword v50, v212, s[20:23], 0 idxen             // 0000000070A0: E0502000 800532D4
	buffer_load_dword v51, v213, s[20:23], 0 idxen             // 0000000070A8: E0502000 800533D5
	v_mfma_f32_16x16x16_bf16 v[136:139], v[58:59], a[32:33], v[136:139]// 0000000070B0: D3E10088 1622413A
	v_perm_b32 v74, v45, v44, s63                              // 0000000070B8: D1ED004A 00FE592D
	v_perm_b32 v75, v45, v44, s64                              // 0000000070C0: D1ED004B 0102592D
	v_perm_b32 v76, v47, v46, s63                              // 0000000070C8: D1ED004C 00FE5D2F
	v_mov_b32_dpp v131, v128 quad_perm:[3,3,3,3] row_mask:0xf bank_mask:0xf// 0000000070D0: 7F0602FA FF00FF80
	v_mov_b32_dpp v130, v128 quad_perm:[2,2,2,2] row_mask:0xf bank_mask:0xf// 0000000070D8: 7F0402FA FF00AA80
	v_mfma_f32_16x16x16_bf16 v[136:139], v[60:61], a[38:39], v[136:139]// 0000000070E0: D3E10088 16224D3C
	ds_read_b128 v[92:95], v10 offset:15744                    // 0000000070E8: D9FE3D80 5C00000A
	ds_read_b128 v[96:99], v10 offset:17408                    // 0000000070F0: D9FE4400 6000000A
	ds_read_b128 v[100:103], v10 offset:17920                  // 0000000070F8: D9FE4600 6400000A
	buffer_load_dword v52, v212, s[20:23], 0 idxen offset:128  // 000000007100: E0502080 800534D4
	buffer_load_dword v53, v213, s[20:23], 0 idxen offset:128  // 000000007108: E0502080 800535D5
	v_mfma_f32_16x16x16_bf16 v[136:139], v[62:63], a[44:45], v[136:139]// 000000007110: D3E10088 1622593E
	v_perm_b32 v77, v47, v46, s64                              // 000000007118: D1ED004D 01025D2F
	v_perm_b32 v78, v49, v48, s63                              // 000000007120: D1ED004E 00FE6131
	v_perm_b32 v79, v49, v48, s64                              // 000000007128: D1ED004F 01026131
	v_mov_b32_dpp v129, v128 quad_perm:[1,1,1,1] row_mask:0xf bank_mask:0xf// 000000007130: 7F0202FA FF005580
	v_mov_b32_dpp v128, v128 quad_perm:[0,0,0,0] row_mask:0xf bank_mask:0xf// 000000007138: 7F0002FA FF000080
	v_mfma_f32_16x16x16_bf16 v[140:143], v[56:57], a[28:29], 0 // 000000007140: D3E1008C 12023938
	buffer_load_dword v9, s[24:27], 0 idxen lds                // 000000007148: E0512000 80060009
	v_mov_b32_e32 v42, 0                                       // 000000007150: 7E540280
	s_mov_b64 exec, s[90:91]                                   // 000000007154: BEFE015A
	buffer_load_dword v42, v1, s[8:11], 0 idxen offset:256     // 000000007158: E0502100 80022A01
	s_mov_b32 exec_lo, -1                                      // 000000007160: BEFE00C1
	s_mov_b32 exec_hi, -1                                      // 000000007164: BEFF00C1
	v_mov_b32_e32 v43, 0                                       // 000000007168: 7E560280
	s_mov_b64 exec, s[90:91]                                   // 00000000716C: BEFE015A
	buffer_load_dword v43, v2, s[8:11], 0 idxen offset:256     // 000000007170: E0502100 80022B02
	s_mov_b32 exec_lo, -1                                      // 000000007178: BEFE00C1
	s_mov_b32 exec_hi, -1                                      // 00000000717C: BEFF00C1
	v_mfma_f32_16x16x16_bf16 v[140:143], v[58:59], a[34:35], v[140:143]// 000000007180: D3E1008C 1632453A
	s_add_u32 s60, 64, s59                                     // 000000007188: 803C3BC0
	s_cmp_lt_u32 s60, s58                                      // 00000000718C: BF0A3A3C
	s_cselect_b32 s68, s68, 0                                  // 000000007190: 85448044
	s_cselect_b32 s99, s99, 0                                  // 000000007194: 85638063
	;; [unrolled: 1-line block ×3, first 2 shown]
	v_mfma_f32_16x16x16_bf16 v[140:143], v[60:61], a[40:41], v[140:143]// 00000000719C: D3E1008C 1632513C
	v_mov_b32_e32 v54, 0                                       // 0000000071A4: 7E6C0280
	s_mov_b64 exec, s[90:91]                                   // 0000000071A8: BEFE015A
	buffer_load_dword v54, v212, s[20:23], 0 idxen offset:256  // 0000000071AC: E0502100 800536D4
	s_mov_b32 exec_lo, -1                                      // 0000000071B4: BEFE00C1
	s_mov_b32 exec_hi, -1                                      // 0000000071B8: BEFF00C1
	v_mov_b32_e32 v55, 0                                       // 0000000071BC: 7E6E0280
	s_mov_b64 exec, s[90:91]                                   // 0000000071C0: BEFE015A
	buffer_load_dword v55, v213, s[20:23], 0 idxen offset:256  // 0000000071C4: E0502100 800537D5
	s_mov_b32 exec_lo, -1                                      // 0000000071CC: BEFE00C1
	s_mov_b32 exec_hi, -1                                      // 0000000071D0: BEFF00C1
	v_add_u32_e32 v1, s68, v1                                  // 0000000071D4: 68020244
	v_add_u32_e32 v2, s68, v2                                  // 0000000071D8: 68040444
	v_add_u32_e32 v212, s99, v212                              // 0000000071DC: 69A9A863
	v_add_u32_e32 v213, s99, v213                              // 0000000071E0: 69ABAA63
	s_mov_b32 m0, s80                                          // 0000000071E4: BEFC0050
	v_add_u32_e32 v9, s69, v9                                  // 0000000071E8: 68121245
	v_mfma_f32_16x16x16_bf16 v[140:143], v[62:63], a[46:47], v[140:143]// 0000000071EC: D3E1008C 16325D3E
	s_cmp_ge_u32 s59, s73                                      // 0000000071F4: BF09493B
	s_cselect_b32 s66, s67, s66                                // 0000000071F8: 85424243
	s_addk_i32 s59, 0x10                                       // 0000000071FC: B73B0010
	s_nop 0                                                    // 000000007200: BF800000
	s_cmp_lt_i32 s59, s58                                      // 000000007204: BF043A3B
	s_cbranch_scc0 label_0AC1                                  // 000000007208: BF84FDBE
	s_waitcnt lgkmcnt(0)                                       // 00000000720C: BF8CC07F
	s_barrier                                                  // 000000007210: BF8A0000
	v_mfma_f32_16x16x16_bf16 v[56:59], a[72:73], a[0:1], 0     // 000000007214: D3E10038 1A020148
	v_mul_f32_e32 v132, s47, v132                              // 00000000721C: 0B09082F
	v_mul_f32_e32 v133, s47, v133                              // 000000007220: 0B0B0A2F
	v_mul_f32_e32 v134, s47, v134                              // 000000007224: 0B0D0C2F
	v_mul_f32_e32 v135, s47, v135                              // 000000007228: 0B0F0E2F
	v_mfma_f32_16x16x16_bf16 v[56:59], a[74:75], a[2:3], v[56:59]// 00000000722C: D3E10038 1CE2054A
	ds_write_b32 v11, v44 offset:13056                         // 000000007234: D81A3300 00002C0B
	ds_write_b32 v11, v45 offset:14112                         // 00000000723C: D81A3720 00002D0B
	ds_write_b32 v11, v46 offset:15232                         // 000000007244: D81A3B80 00002E0B
	v_mfma_f32_16x16x16_bf16 v[56:59], a[76:77], a[4:5], v[56:59]// 00000000724C: D3E10038 1CE2094C
	v_mul_f32_e32 v136, s47, v136                              // 000000007254: 0B11102F
	v_mul_f32_e32 v137, s47, v137                              // 000000007258: 0B13122F
	v_mul_f32_e32 v138, s47, v138                              // 00000000725C: 0B15142F
	v_mul_f32_e32 v139, s47, v139                              // 000000007260: 0B17162F
	v_mfma_f32_16x16x16_bf16 v[56:59], a[78:79], a[6:7], v[56:59]// 000000007264: D3E10038 1CE20D4E
	ds_write_b32 v11, v47 offset:16288                         // 00000000726C: D81A3FA0 00002F0B
	ds_write_b32 v11, v48 offset:17408                         // 000000007274: D81A4400 0000300B
	ds_write_b32 v11, v49 offset:18464                         // 00000000727C: D81A4820 0000310B
	v_mfma_f32_16x16x16_bf16 v[56:59], a[80:81], a[8:9], v[56:59]// 000000007284: D3E10038 1CE21150
	v_mul_f32_e32 v140, s47, v140                              // 00000000728C: 0B19182F
	v_mul_f32_e32 v141, s47, v141                              // 000000007290: 0B1B1A2F
	v_mul_f32_e32 v142, s47, v142                              // 000000007294: 0B1D1C2F
	v_mul_f32_e32 v143, s47, v143                              // 000000007298: 0B1F1E2F
	v_mfma_f32_16x16x16_bf16 v[56:59], a[82:83], a[10:11], v[56:59]// 00000000729C: D3E10038 1CE21552
	ds_write_b64 v20, v[132:133] offset:28416                  // 0000000072A4: D89A6F00 00008414
	ds_write_b64 v20, v[134:135] offset:28928                  // 0000000072AC: D89A7100 00008614
	v_mfma_f32_16x16x16_bf16 v[56:59], a[84:85], a[12:13], v[56:59]// 0000000072B4: D3E10038 1CE21954
	ds_write_b64 v20, v[136:137] offset:29440                  // 0000000072BC: D89A7300 00008814
	ds_write_b64 v20, v[138:139] offset:29952                  // 0000000072C4: D89A7500 00008A14
	v_mfma_f32_16x16x16_bf16 v[56:59], a[86:87], a[14:15], v[56:59]// 0000000072CC: D3E10038 1CE21D56
	ds_write_b64 v20, v[140:141] offset:30464                  // 0000000072D4: D89A7700 00008C14
	ds_write_b64 v20, v[142:143] offset:30976                  // 0000000072DC: D89A7900 00008E14
	v_mfma_f32_16x16x16_bf16 v[56:59], a[88:89], a[16:17], v[56:59]// 0000000072E4: D3E10038 1CE22158
	ds_read_b128 v[104:107], v12 offset:19584                  // 0000000072EC: D9FE4C80 6800000C
	v_mfma_f32_16x16x16_bf16 v[56:59], a[90:91], a[18:19], v[56:59]// 0000000072F4: D3E10038 1CE2255A
	ds_read_b128 v[108:111], v12 offset:20096                  // 0000000072FC: D9FE4E80 6C00000C
	v_mfma_f32_16x16x16_bf16 v[56:59], a[92:93], a[20:21], v[56:59]// 000000007304: D3E10038 1CE2295C
	ds_read_b128 v[112:115], v12 offset:21760                  // 00000000730C: D9FE5500 7000000C
	ds_read_b128 v[116:119], v12 offset:22272                  // 000000007314: D9FE5700 7400000C
	v_mfma_f32_16x16x16_bf16 v[56:59], a[94:95], a[22:23], v[56:59]// 00000000731C: D3E10038 1CE22D5E
	ds_read_b128 v[120:123], v12 offset:23936                  // 000000007324: D9FE5D80 7800000C
	ds_read_b128 v[124:127], v12 offset:24448                  // 00000000732C: D9FE5F80 7C00000C
	s_cmp_lt_i32 s74, 4                                        // 000000007334: BF04844A
	s_cbranch_scc0 label_0D79                                  // 000000007338: BF84002A
	s_mov_b32 s60, 0xffe0fffe                                  // 00000000733C: BEBC00FF FFE0FFFE
	s_mov_b32 s61, 0xe000fe00                                  // 000000007344: BEBD00FF E000FE00
	s_nop 0                                                    // 00000000734C: BF800000
	s_cmp_lt_i32 s74, s46                                      // 000000007350: BF042E4A
	s_cbranch_scc1 label_0D74                                  // 000000007354: BF85001E
	s_cmp_eq_i32 s74, s46                                      // 000000007358: BF002E4A
	s_cbranch_scc1 label_0D59                                  // 00000000735C: BF850001
	s_branch label_0D79                                        // 000000007360: BF820020

0000000000007364 <label_0D59>:
	v_cndmask_b32_e64 v56, v56, v159, s[60:61]                 // 000000007364: D1000038 00F33F38
	s_lshl_b32 s60, s60, 1                                     // 00000000736C: 8E3C813C
	s_lshl_b32 s61, s61, 1                                     // 000000007370: 8E3D813D
	s_and_b32 s60, 0xfffeffff, s60                             // 000000007374: 863C3CFF FFFEFFFF
	s_and_b32 s61, 0xfffeffff, s61                             // 00000000737C: 863D3DFF FFFEFFFF
	v_cndmask_b32_e64 v57, v57, v159, s[60:61]                 // 000000007384: D1000039 00F33F39
	s_lshl_b32 s60, s60, 1                                     // 00000000738C: 8E3C813C
	s_lshl_b32 s61, s61, 1                                     // 000000007390: 8E3D813D
	s_and_b32 s60, 0xfffeffff, s60                             // 000000007394: 863C3CFF FFFEFFFF
	s_and_b32 s61, 0xfffeffff, s61                             // 00000000739C: 863D3DFF FFFEFFFF
	v_cndmask_b32_e64 v58, v58, v159, s[60:61]                 // 0000000073A4: D100003A 00F33F3A
	s_lshl_b32 s60, s60, 1                                     // 0000000073AC: 8E3C813C
	s_lshl_b32 s61, s61, 1                                     // 0000000073B0: 8E3D813D
	s_and_b32 s60, 0xfffeffff, s60                             // 0000000073B4: 863C3CFF FFFEFFFF
	s_and_b32 s61, 0xfffeffff, s61                             // 0000000073BC: 863D3DFF FFFEFFFF
	v_cndmask_b32_e64 v59, v59, v159, s[60:61]                 // 0000000073C4: D100003B 00F33F3B
	s_branch label_0D79                                        // 0000000073CC: BF820005

00000000000073d0 <label_0D74>:
	v_mov_b32_e32 v56, v159                                    // 0000000073D0: 7E70039F
	v_mov_b32_e32 v57, v159                                    // 0000000073D4: 7E72039F
	v_mov_b32_e32 v58, v159                                    // 0000000073D8: 7E74039F
	v_mov_b32_e32 v59, v159                                    // 0000000073DC: 7E76039F
	s_branch label_0D79                                        // 0000000073E0: BF820000

00000000000073e4 <label_0D79>:
	s_cmp_lt_i32 s100, 64                                      // 0000000073E4: BF04C064
	s_cbranch_scc0 label_0D8A                                  // 0000000073E8: BF84000F
	v_and_b32_e32 v28, 15, v0                                  // 0000000073EC: 2638008F
	v_mul_i32_i24_e64 v29, s46, 16                             // 0000000073F0: D106001D 0001202E
	v_add_u32_e32 v28, v28, v29                                // 0000000073F8: 68383B1C
	v_cmp_lt_u32_e64 s[60:61], v28, s100                       // 0000000073FC: D0C9003C 0000C91C
	s_nop 1                                                    // 000000007404: BF800001
	v_cndmask_b32_e64 v56, v159, v56, s[60:61]                 // 000000007408: D1000038 00F2719F
	v_cndmask_b32_e64 v57, v159, v57, s[60:61]                 // 000000007410: D1000039 00F2739F
	v_cndmask_b32_e64 v58, v159, v58, s[60:61]                 // 000000007418: D100003A 00F2759F
	v_cndmask_b32_e64 v59, v159, v59, s[60:61]                 // 000000007420: D100003B 00F2779F

0000000000007428 <label_0D8A>:
	s_addk_i32 s74, 0x1                                        // 000000007428: B74A0001
	s_waitcnt lgkmcnt(6)                                       // 00000000742C: BF8CC67F
	s_barrier                                                  // 000000007430: BF8A0000
	v_mfma_f32_16x16x16_bf16 v[64:67], v[80:81], a[48:49], 0   // 000000007434: D3E10040 12026150
	v_fma_f32 v56, v56, s57, -v128                             // 00000000743C: D1CB0038 86007338
	v_fma_f32 v57, v57, s57, -v129                             // 000000007444: D1CB0039 86047339
	v_fma_f32 v58, v58, s57, -v130                             // 00000000744C: D1CB003A 8608733A
	v_fma_f32 v59, v59, s57, -v131                             // 000000007454: D1CB003B 860C733B
	v_mfma_f32_16x16x16_bf16 v[64:67], v[82:83], a[50:51], v[64:67]// 00000000745C: D3E10040 15026552
	ds_read_b128 a[72:75], v12 offset:6528                     // 000000007464: DBFE1980 4800000C
	ds_read_b128 a[76:79], v12 offset:7040                     // 00000000746C: DBFE1B80 4C00000C
	ds_write_b32 v11, v32                                      // 000000007474: D81A0000 0000200B
	ds_write_b32 v11, v33 offset:1056                          // 00000000747C: D81A0420 0000210B
	v_mfma_f32_16x16x16_bf16 v[64:67], v[84:85], a[52:53], v[64:67]// 000000007484: D3E10040 15026954
	v_exp_f32_e32 v56, v56                                     // 00000000748C: 7E704138
	v_mfma_f32_16x16x16_bf16 v[64:67], v[86:87], a[54:55], v[64:67]// 000000007490: D3E10040 15026D56
	ds_read_b128 a[80:83], v12 offset:8704                     // 000000007498: DBFE2200 5000000C
	ds_read_b128 a[84:87], v12 offset:9216                     // 0000000074A0: DBFE2400 5400000C
	ds_write_b32 v11, v34 offset:2176                          // 0000000074A8: D81A0880 0000220B
	v_mfma_f32_16x16x16_bf16 v[64:67], v[88:89], a[56:57], v[64:67]// 0000000074B0: D3E10040 15027158
	v_exp_f32_e32 v57, v57                                     // 0000000074B8: 7E724139
	v_mfma_f32_16x16x16_bf16 v[64:67], v[90:91], a[58:59], v[64:67]// 0000000074BC: D3E10040 1502755A
	ds_read_b128 a[88:91], v12 offset:10880                    // 0000000074C4: DBFE2A80 5800000C
	ds_read_b128 a[92:95], v12 offset:11392                    // 0000000074CC: DBFE2C80 5C00000C
	ds_write_b32 v11, v35 offset:3232                          // 0000000074D4: D81A0CA0 0000230B
	v_mfma_f32_16x16x16_bf16 v[64:67], v[92:93], a[60:61], v[64:67]// 0000000074DC: D3E10040 1502795C
	v_exp_f32_e32 v58, v58                                     // 0000000074E4: 7E74413A
	v_mfma_f32_16x16x16_bf16 v[64:67], v[94:95], a[62:63], v[64:67]// 0000000074E8: D3E10040 15027D5E
	ds_read_b64 v[144:145], v19 offset:28416                   // 0000000074F0: D8EC6F00 90000013
	ds_read_b64 v[146:147], v19 offset:30464                   // 0000000074F8: D8EC7700 92000013
	ds_read_b64 v[148:149], v19 offset:32512                   // 000000007500: D8EC7F00 94000013
	ds_write_b32 v11, v36 offset:4352                          // 000000007508: D81A1100 0000240B
	v_mfma_f32_16x16x16_bf16 v[64:67], v[96:97], a[64:65], v[64:67]// 000000007510: D3E10040 15028160
	v_exp_f32_e32 v59, v59                                     // 000000007518: 7E76413B
	v_mfma_f32_16x16x16_bf16 v[64:67], v[98:99], a[66:67], v[64:67]// 00000000751C: D3E10040 15028562
	ds_read_b64 v[150:151], v19 offset:34560                   // 000000007524: D8EC8700 96000013
	ds_read_b64 v[152:153], v19 offset:36608                   // 00000000752C: D8EC8F00 98000013
	ds_read_b64 v[154:155], v19 offset:38656                   // 000000007534: D8EC9700 9A000013
	ds_write_b32 v11, v37 offset:5408                          // 00000000753C: D81A1520 0000250B
	v_mfma_f32_16x16x16_bf16 v[64:67], v[100:101], a[68:69], v[64:67]// 000000007544: D3E10040 15028964
	v_cmp_u_f32_e64 s[78:79], v56, v56                         // 00000000754C: D048004E 00027138
	v_bfe_u32 v208, v56, 16, 1                                 // 000000007554: D1C800D0 02052138
	v_add3_u32 v208, v56, v208, v211                           // 00000000755C: D1FF00D0 074FA138
	v_cndmask_b32_e64 v28, v208, v210, s[78:79]                // 000000007564: D100001C 013BA5D0
	v_lshrrev_b32_e32 v28, 16, v28                             // 00000000756C: 20383890
	v_cmp_u_f32_e64 s[78:79], v57, v57                         // 000000007570: D048004E 00027339
	v_bfe_u32 v208, v57, 16, 1                                 // 000000007578: D1C800D0 02052139
	v_add3_u32 v208, v57, v208, v211                           // 000000007580: D1FF00D0 074FA139
	v_cndmask_b32_e64 v29, v208, v210, s[78:79]                // 000000007588: D100001D 013BA5D0
	v_and_or_b32 v156, v29, v209, v28                          // 000000007590: D201009C 0473A31D
	v_mfma_f32_16x16x16_bf16 v[64:67], v[102:103], a[70:71], v[64:67]// 000000007598: D3E10040 15028D66
	v_cmp_u_f32_e64 s[78:79], v58, v58                         // 0000000075A0: D048004E 0002753A
	v_bfe_u32 v208, v58, 16, 1                                 // 0000000075A8: D1C800D0 0205213A
	v_add3_u32 v208, v58, v208, v211                           // 0000000075B0: D1FF00D0 074FA13A
	v_cndmask_b32_e64 v28, v208, v210, s[78:79]                // 0000000075B8: D100001C 013BA5D0
	v_lshrrev_b32_e32 v28, 16, v28                             // 0000000075C0: 20383890
	v_cmp_u_f32_e64 s[78:79], v59, v59                         // 0000000075C4: D048004E 0002773B
	v_bfe_u32 v208, v59, 16, 1                                 // 0000000075CC: D1C800D0 0205213B
	v_add3_u32 v208, v59, v208, v211                           // 0000000075D4: D1FF00D0 074FA13B
	v_cndmask_b32_e64 v29, v208, v210, s[78:79]                // 0000000075DC: D100001D 013BA5D0
	v_and_or_b32 v157, v29, v209, v28                          // 0000000075E4: D201009D 0473A31D
	v_add_u32_e32 v7, s66, v7                                  // 0000000075EC: 680E0E42
	v_add_u32_e32 v8, s66, v8                                  // 0000000075F0: 68101042
	s_waitcnt lgkmcnt(0)                                       // 0000000075F4: BF8CC07F
	s_barrier                                                  // 0000000075F8: BF8A0000
	v_mfma_f32_16x16x16_bf16 v[160:163], v[104:105], v[156:157], v[160:163]// 0000000075FC: D3E100A0 06833968
	v_subrev_f32_dpp v64, v158, v64 quad_perm:[0,0,0,0] row_mask:0xf bank_mask:0xf// 000000007604: 068080FA FF00009E
	v_subrev_f32_dpp v65, v158, v65 quad_perm:[1,1,1,1] row_mask:0xf bank_mask:0xf// 00000000760C: 068282FA FF00559E
	buffer_atomic_add_f32 v144, v7, s[32:35], 0 offen          // 000000007614: E1341000 80089007
	v_mfma_f32_16x16x16_bf16 v[164:167], v[106:107], v[156:157], v[164:167]// 00000000761C: D3E100A4 0693396A
	v_subrev_f32_dpp v66, v158, v66 quad_perm:[2,2,2,2] row_mask:0xf bank_mask:0xf// 000000007624: 068484FA FF00AA9E
	v_subrev_f32_dpp v67, v158, v67 quad_perm:[3,3,3,3] row_mask:0xf bank_mask:0xf// 00000000762C: 068686FA FF00FF9E
	buffer_atomic_add_f32 v145, v8, s[32:35], 0 offen          // 000000007634: E1341000 80089108
	v_mfma_f32_16x16x16_bf16 v[168:171], v[108:109], v[156:157], v[168:171]// 00000000763C: D3E100A8 06A3396C
	v_mul_f32_e32 v64, v56, v64                                // 000000007644: 0A808138
	v_mul_f32_e32 v65, v57, v65                                // 000000007648: 0A828339
	buffer_atomic_add_f32 v146, v7, s[32:35], 0 offen offset:128// 00000000764C: E1341080 80089207
	v_mfma_f32_16x16x16_bf16 v[172:175], v[110:111], v[156:157], v[172:175]// 000000007654: D3E100AC 06B3396E
	v_mul_f32_e32 v66, v58, v66                                // 00000000765C: 0A84853A
	v_mul_f32_e32 v67, v59, v67                                // 000000007660: 0A86873B
	buffer_atomic_add_f32 v147, v8, s[32:35], 0 offen offset:128// 000000007664: E1341080 80089308
	v_mfma_f32_16x16x16_bf16 v[176:179], v[112:113], v[156:157], v[176:179]// 00000000766C: D3E100B0 06C33970
	v_cmp_u_f32_e64 s[78:79], v64, v64                         // 000000007674: D048004E 00028140
	v_bfe_u32 v208, v64, 16, 1                                 // 00000000767C: D1C800D0 02052140
	v_add3_u32 v208, v64, v208, v211                           // 000000007684: D1FF00D0 074FA140
	v_cndmask_b32_e64 v28, v208, v210, s[78:79]                // 00000000768C: D100001C 013BA5D0
	v_lshrrev_b32_e32 v28, 16, v28                             // 000000007694: 20383890
	v_cmp_u_f32_e64 s[78:79], v65, v65                         // 000000007698: D048004E 00028341
	v_bfe_u32 v208, v65, 16, 1                                 // 0000000076A0: D1C800D0 02052141
	v_add3_u32 v208, v65, v208, v211                           // 0000000076A8: D1FF00D0 074FA141
	v_cndmask_b32_e64 v29, v208, v210, s[78:79]                // 0000000076B0: D100001D 013BA5D0
	v_and_or_b32 v64, v29, v209, v28                           // 0000000076B8: D2010040 0473A31D
	v_mfma_f32_16x16x16_bf16 v[180:183], v[114:115], v[156:157], v[180:183]// 0000000076C0: D3E100B4 06D33972
	v_cmp_u_f32_e64 s[78:79], v66, v66                         // 0000000076C8: D048004E 00028542
	v_bfe_u32 v208, v66, 16, 1                                 // 0000000076D0: D1C800D0 02052142
	v_add3_u32 v208, v66, v208, v211                           // 0000000076D8: D1FF00D0 074FA142
	v_cndmask_b32_e64 v28, v208, v210, s[78:79]                // 0000000076E0: D100001C 013BA5D0
	v_lshrrev_b32_e32 v28, 16, v28                             // 0000000076E8: 20383890
	v_cmp_u_f32_e64 s[78:79], v67, v67                         // 0000000076EC: D048004E 00028743
	v_bfe_u32 v208, v67, 16, 1                                 // 0000000076F4: D1C800D0 02052143
	v_add3_u32 v208, v67, v208, v211                           // 0000000076FC: D1FF00D0 074FA143
	v_cndmask_b32_e64 v29, v208, v210, s[78:79]                // 000000007704: D100001D 013BA5D0
	v_and_or_b32 v65, v29, v209, v28                           // 00000000770C: D2010041 0473A31D
	v_mfma_f32_16x16x16_bf16 v[184:187], v[116:117], v[156:157], v[184:187]// 000000007714: D3E100B8 06E33974
	v_mov_b32_dpp v16, v64 quad_perm:[1,0,3,2] row_mask:0xf bank_mask:0xf// 00000000771C: 7E2002FA FF00B140
	v_perm_b32 v56, v16, v64, v15                              // 000000007724: D1ED0038 043E8110
	buffer_atomic_add_f32 v148, v7, s[32:35], 0 offen offset:256// 00000000772C: E1341100 80089407
	v_mfma_f32_16x16x16_bf16 v[188:191], v[118:119], v[156:157], v[188:191]// 000000007734: D3E100BC 06F33976
	v_mov_b32_dpp v16, v65 quad_perm:[1,0,3,2] row_mask:0xf bank_mask:0xf// 00000000773C: 7E2002FA FF00B141
	v_perm_b32 v57, v16, v65, v15                              // 000000007744: D1ED0039 043E8310
	buffer_atomic_add_f32 v149, v8, s[32:35], 0 offen offset:256// 00000000774C: E1341100 80089508
	v_mfma_f32_16x16x16_bf16 v[192:195], v[120:121], v[156:157], v[192:195]// 000000007754: D3E100C0 07033978
	ds_write_b32 v13, v68 offset:6528                          // 00000000775C: D81A1980 0000440D
	ds_write_b32 v13, v69 offset:7584                          // 000000007764: D81A1DA0 0000450D
	v_mfma_f32_16x16x16_bf16 v[196:199], v[122:123], v[156:157], v[196:199]// 00000000776C: D3E100C4 0713397A
	ds_write_b32 v18, v56 offset:26112                         // 000000007774: D81A6600 00003812
	ds_write_b32 v18, v57 offset:26656                         // 00000000777C: D81A6820 00003912
	v_mfma_f32_16x16x16_bf16 v[200:203], v[124:125], v[156:157], v[200:203]// 000000007784: D3E100C8 0723397C
	ds_write_b32 v13, v70 offset:8704                          // 00000000778C: D81A2200 0000460D
	ds_write_b32 v13, v71 offset:9760                          // 000000007794: D81A2620 0000470D
	v_mfma_f32_16x16x16_bf16 v[204:207], v[126:127], v[156:157], v[204:207]// 00000000779C: D3E100CC 0733397E
	ds_write_b32 v13, v72 offset:10880                         // 0000000077A4: D81A2A80 0000480D
	ds_write_b32 v13, v73 offset:11936                         // 0000000077AC: D81A2EA0 0000490D
	s_barrier                                                  // 0000000077B4: BF8A0000
	v_mfma_f32_16x16x16_bf16 a[96:99], a[72:73], v[64:65], a[96:99]// 0000000077B8: D3E18060 0D828148
	ds_read_b32 v128, v21 offset:40704                         // 0000000077C0: D86C9F00 80000015
	ds_read_b32 v158, v21 offset:40960                         // 0000000077C8: D86CA000 9E000015
	v_mfma_f32_16x16x16_bf16 a[100:103], a[74:75], v[64:65], a[100:103]// 0000000077D0: D3E18064 0D92814A
	buffer_atomic_add_f32 v150, v7, s[32:35], 0 offen offset:384// 0000000077D8: E1341180 80089607
	buffer_atomic_add_f32 v151, v8, s[32:35], 0 offen offset:384// 0000000077E0: E1341180 80089708
	v_mfma_f32_16x16x16_bf16 a[104:107], a[76:77], v[64:65], a[104:107]// 0000000077E8: D3E18068 0DA2814C
	s_waitcnt lgkmcnt(6)                                       // 0000000077F0: BF8CC67F
	s_barrier                                                  // 0000000077F4: BF8A0000
	v_mfma_f32_16x16x16_bf16 a[108:111], a[78:79], v[64:65], a[108:111]// 0000000077F8: D3E1806C 0DB2814E
	s_mov_b64 exec, s[94:95]                                   // 000000007800: BEFE015E
	buffer_atomic_add_f32 v152, v7, s[32:35], 0 offen offset:512// 000000007804: E1341200 80089807
	s_mov_b32 exec_lo, -1                                      // 00000000780C: BEFE00C1
	s_mov_b32 exec_hi, -1                                      // 000000007810: BEFF00C1
	v_mfma_f32_16x16x16_bf16 a[112:115], a[80:81], v[64:65], a[112:115]// 000000007814: D3E18070 0DC28150
	ds_read_b128 v[56:59], v17 offset:26112                    // 00000000781C: D9FE6600 38000011
	v_mfma_f32_16x16x16_bf16 a[116:119], a[82:83], v[64:65], a[116:119]// 000000007824: D3E18074 0DD28152
	s_mov_b64 exec, s[94:95]                                   // 00000000782C: BEFE015E
	buffer_atomic_add_f32 v153, v8, s[32:35], 0 offen offset:512// 000000007830: E1341200 80089908
	s_mov_b32 exec_lo, -1                                      // 000000007838: BEFE00C1
	s_mov_b32 exec_hi, -1                                      // 00000000783C: BEFF00C1
	v_mfma_f32_16x16x16_bf16 a[120:123], a[84:85], v[64:65], a[120:123]// 000000007840: D3E18078 0DE28154
	ds_read_b128 v[60:63], v17 offset:27264                    // 000000007848: D9FE6A80 3C000011
	v_mfma_f32_16x16x16_bf16 a[124:127], a[86:87], v[64:65], a[124:127]// 000000007850: D3E1807C 0DF28156
	s_mov_b64 exec, s[96:97]                                   // 000000007858: BEFE0160
	buffer_atomic_add_f32 v154, v7, s[32:35], 0 offen offset:640// 00000000785C: E1341280 80089A07
	s_mov_b32 exec_lo, -1                                      // 000000007864: BEFE00C1
	s_mov_b32 exec_hi, -1                                      // 000000007868: BEFF00C1
	v_mfma_f32_16x16x16_bf16 a[128:131], a[88:89], v[64:65], a[128:131]// 00000000786C: D3E18080 0E028158
	ds_write_b32 v13, v74 offset:19584                         // 000000007874: D81A4C80 00004A0D
	ds_write_b32 v13, v75 offset:20640                         // 00000000787C: D81A50A0 00004B0D
	v_mfma_f32_16x16x16_bf16 a[132:135], a[90:91], v[64:65], a[132:135]// 000000007884: D3E18084 0E12815A
	s_mov_b64 exec, s[96:97]                                   // 00000000788C: BEFE0160
	buffer_atomic_add_f32 v155, v8, s[32:35], 0 offen offset:640// 000000007890: E1341280 80089B08
	s_mov_b32 exec_lo, -1                                      // 000000007898: BEFE00C1
	s_mov_b32 exec_hi, -1                                      // 00000000789C: BEFF00C1
	v_mfma_f32_16x16x16_bf16 a[136:139], a[92:93], v[64:65], a[136:139]// 0000000078A0: D3E18088 0E22815C
	ds_write_b32 v13, v76 offset:21760                         // 0000000078A8: D81A5500 00004C0D
	ds_write_b32 v13, v77 offset:22816                         // 0000000078B0: D81A5920 00004D0D
	v_mfma_f32_16x16x16_bf16 a[140:143], a[94:95], v[64:65], a[140:143]// 0000000078B8: D3E1808C 0E32815E
	ds_write_b32 v13, v78 offset:23936                         // 0000000078C0: D81A5D80 00004E0D
	ds_write_b32 v13, v79 offset:24992                         // 0000000078C8: D81A61A0 00004F0D
	s_waitcnt vmcnt(12) lgkmcnt(6)                             // 0000000078D0: BF8C067C
	s_barrier                                                  // 0000000078D4: BF8A0000
	v_mfma_f32_16x16x16_bf16 v[132:135], v[56:57], a[24:25], 0 // 0000000078D8: D3E10084 12023138
	ds_read_b128 a[72:75], v10                                 // 0000000078E0: DBFE0000 4800000A
	ds_read_b128 a[76:79], v10 offset:512                      // 0000000078E8: DBFE0200 4C00000A
	ds_read_b128 a[80:83], v10 offset:2176                     // 0000000078F0: DBFE0880 5000000A
	buffer_load_dword v32, v1, s[8:11], 0 idxen                // 0000000078F8: E0502000 80022001
	buffer_load_dword v33, v2, s[8:11], 0 idxen                // 000000007900: E0502000 80022102
	v_mfma_f32_16x16x16_bf16 v[132:135], v[58:59], a[30:31], v[132:135]// 000000007908: D3E10084 16123D3A
	v_mul_f32_e32 v128, s48, v128                              // 000000007910: 0B010030
	v_perm_b32 v68, v39, v38, s63                              // 000000007914: D1ED0044 00FE4D27
	v_perm_b32 v69, v39, v38, s64                              // 00000000791C: D1ED0045 01024D27
	v_perm_b32 v70, v41, v40, s63                              // 000000007924: D1ED0046 00FE5129
	v_mfma_f32_16x16x16_bf16 v[132:135], v[60:61], a[36:37], v[132:135]// 00000000792C: D3E10084 1612493C
	ds_read_b128 a[84:87], v10 offset:2688                     // 000000007934: DBFE0A80 5400000A
	ds_read_b128 a[88:91], v10 offset:4352                     // 00000000793C: DBFE1100 5800000A
	ds_read_b128 a[92:95], v10 offset:4864                     // 000000007944: DBFE1300 5C00000A
	buffer_load_dword v34, v1, s[8:11], 0 idxen offset:128     // 00000000794C: E0502080 80022201
	buffer_load_dword v35, v2, s[8:11], 0 idxen offset:128     // 000000007954: E0502080 80022302
	v_mfma_f32_16x16x16_bf16 v[132:135], v[62:63], a[42:43], v[132:135]// 00000000795C: D3E10084 1612553E
	v_perm_b32 v71, v41, v40, s64                              // 000000007964: D1ED0047 01025129
	v_perm_b32 v72, v43, v42, s63                              // 00000000796C: D1ED0048 00FE552B
	v_perm_b32 v73, v43, v42, s64                              // 000000007974: D1ED0049 0102552B
	v_mfma_f32_16x16x16_bf16 v[136:139], v[56:57], a[26:27], 0 // 00000000797C: D3E10088 12023538
	ds_read_b128 v[80:83], v10 offset:13056                    // 000000007984: D9FE3300 5000000A
	ds_read_b128 v[84:87], v10 offset:13568                    // 00000000798C: D9FE3500 5400000A
	ds_read_b128 v[88:91], v10 offset:15232                    // 000000007994: D9FE3B80 5800000A
	buffer_load_dword v44, v212, s[20:23], 0 idxen             // 00000000799C: E0502000 80052CD4
	buffer_load_dword v45, v213, s[20:23], 0 idxen             // 0000000079A4: E0502000 80052DD5
	v_mfma_f32_16x16x16_bf16 v[136:139], v[58:59], a[32:33], v[136:139]// 0000000079AC: D3E10088 1622413A
	v_perm_b32 v74, v51, v50, s63                              // 0000000079B4: D1ED004A 00FE6533
	v_perm_b32 v75, v51, v50, s64                              // 0000000079BC: D1ED004B 01026533
	v_perm_b32 v76, v53, v52, s63                              // 0000000079C4: D1ED004C 00FE6935
	v_mov_b32_dpp v131, v128 quad_perm:[3,3,3,3] row_mask:0xf bank_mask:0xf// 0000000079CC: 7F0602FA FF00FF80
	v_mov_b32_dpp v130, v128 quad_perm:[2,2,2,2] row_mask:0xf bank_mask:0xf// 0000000079D4: 7F0402FA FF00AA80
	v_mfma_f32_16x16x16_bf16 v[136:139], v[60:61], a[38:39], v[136:139]// 0000000079DC: D3E10088 16224D3C
	ds_read_b128 v[92:95], v10 offset:15744                    // 0000000079E4: D9FE3D80 5C00000A
	ds_read_b128 v[96:99], v10 offset:17408                    // 0000000079EC: D9FE4400 6000000A
	ds_read_b128 v[100:103], v10 offset:17920                  // 0000000079F4: D9FE4600 6400000A
	buffer_load_dword v46, v212, s[20:23], 0 idxen offset:128  // 0000000079FC: E0502080 80052ED4
	buffer_load_dword v47, v213, s[20:23], 0 idxen offset:128  // 000000007A04: E0502080 80052FD5
	v_mfma_f32_16x16x16_bf16 v[136:139], v[62:63], a[44:45], v[136:139]// 000000007A0C: D3E10088 1622593E
	v_perm_b32 v77, v53, v52, s64                              // 000000007A14: D1ED004D 01026935
	v_perm_b32 v78, v55, v54, s63                              // 000000007A1C: D1ED004E 00FE6D37
	v_perm_b32 v79, v55, v54, s64                              // 000000007A24: D1ED004F 01026D37
	v_mov_b32_dpp v129, v128 quad_perm:[1,1,1,1] row_mask:0xf bank_mask:0xf// 000000007A2C: 7F0202FA FF005580
	v_mov_b32_dpp v128, v128 quad_perm:[0,0,0,0] row_mask:0xf bank_mask:0xf// 000000007A34: 7F0002FA FF000080
	v_mfma_f32_16x16x16_bf16 v[140:143], v[56:57], a[28:29], 0 // 000000007A3C: D3E1008C 12023938
	buffer_load_dword v9, s[24:27], 0 idxen lds                // 000000007A44: E0512000 80060009
	v_mov_b32_e32 v36, 0                                       // 000000007A4C: 7E480280
	s_mov_b64 exec, s[90:91]                                   // 000000007A50: BEFE015A
	buffer_load_dword v36, v1, s[8:11], 0 idxen offset:256     // 000000007A54: E0502100 80022401
	s_mov_b32 exec_lo, -1                                      // 000000007A5C: BEFE00C1
	s_mov_b32 exec_hi, -1                                      // 000000007A60: BEFF00C1
	v_mov_b32_e32 v37, 0                                       // 000000007A64: 7E4A0280
	s_mov_b64 exec, s[90:91]                                   // 000000007A68: BEFE015A
	buffer_load_dword v37, v2, s[8:11], 0 idxen offset:256     // 000000007A6C: E0502100 80022502
	s_mov_b32 exec_lo, -1                                      // 000000007A74: BEFE00C1
	s_mov_b32 exec_hi, -1                                      // 000000007A78: BEFF00C1
	v_mfma_f32_16x16x16_bf16 v[140:143], v[58:59], a[34:35], v[140:143]// 000000007A7C: D3E1008C 1632453A
	s_add_u32 s60, 64, s59                                     // 000000007A84: 803C3BC0
	s_cmp_lt_u32 s60, s58                                      // 000000007A88: BF0A3A3C
	s_cselect_b32 s68, s68, 0                                  // 000000007A8C: 85448044
	s_cselect_b32 s99, s99, 0                                  // 000000007A90: 85638063
	s_cselect_b32 s69, s69, 0                                  // 000000007A94: 85458045
	v_mfma_f32_16x16x16_bf16 v[140:143], v[60:61], a[40:41], v[140:143]// 000000007A98: D3E1008C 1632513C
	v_mov_b32_e32 v48, 0                                       // 000000007AA0: 7E600280
	s_mov_b64 exec, s[90:91]                                   // 000000007AA4: BEFE015A
	buffer_load_dword v48, v212, s[20:23], 0 idxen offset:256  // 000000007AA8: E0502100 800530D4
	s_mov_b32 exec_lo, -1                                      // 000000007AB0: BEFE00C1
	s_mov_b32 exec_hi, -1                                      // 000000007AB4: BEFF00C1
	v_mov_b32_e32 v49, 0                                       // 000000007AB8: 7E620280
	s_mov_b64 exec, s[90:91]                                   // 000000007ABC: BEFE015A
	buffer_load_dword v49, v213, s[20:23], 0 idxen offset:256  // 000000007AC0: E0502100 800531D5
	s_mov_b32 exec_lo, -1                                      // 000000007AC8: BEFE00C1
	s_mov_b32 exec_hi, -1                                      // 000000007ACC: BEFF00C1
	v_add_u32_e32 v1, s68, v1                                  // 000000007AD0: 68020244
	v_add_u32_e32 v2, s68, v2                                  // 000000007AD4: 68040444
	v_add_u32_e32 v212, s99, v212                              // 000000007AD8: 69A9A863
	v_add_u32_e32 v213, s99, v213                              // 000000007ADC: 69ABAA63
	s_mov_b32 m0, s81                                          // 000000007AE0: BEFC0051
	v_add_u32_e32 v9, s69, v9                                  // 000000007AE4: 68121245
	v_mfma_f32_16x16x16_bf16 v[140:143], v[62:63], a[46:47], v[140:143]// 000000007AE8: D3E1008C 16325D3E
	s_cmp_ge_u32 s59, s73                                      // 000000007AF0: BF09493B
	s_cselect_b32 s66, s67, s66                                // 000000007AF4: 85424243
	s_addk_i32 s59, 0x10                                       // 000000007AF8: B73B0010
	s_nop 0                                                    // 000000007AFC: BF800000
	s_cmp_lt_i32 s59, s58                                      // 000000007B00: BF043A3B
	s_cbranch_scc0 label_0AC1                                  // 000000007B04: BF84FB7F
	s_branch label_0AC4                                        // 000000007B08: BF82FB81

0000000000007b0c <label_0F43>:
	v_add_u32_e32 v7, s66, v7                                  // 000000007B0C: 680E0E42
	v_add_u32_e32 v8, s66, v8                                  // 000000007B10: 68101042
	v_lshrrev_b32_e32 v28, 5, v0                               // 000000007B14: 20380085
	v_mul_i32_i24_e32 v25, 0x44, v28                           // 000000007B18: 0C3238FF 00000044
	v_and_b32_e32 v28, 31, v0                                  // 000000007B20: 2638009F
	v_mul_i32_i24_e32 v29, 2, v28                              // 000000007B24: 0C3A3882
	v_add_u32_e32 v25, v29, v25                                // 000000007B28: 6832331D
	s_mul_i32 s60, s46, 0x660                                  // 000000007B2C: 923CFF2E 00000660
	v_add_u32_e32 v25, s60, v25                                // 000000007B34: 6832323C
	v_lshlrev_b32_e32 v25, 2, v25                              // 000000007B38: 24323282
	v_mul_f32_e32 v132, s47, v132                              // 000000007B3C: 0B09082F
	v_mul_f32_e32 v133, s47, v133                              // 000000007B40: 0B0B0A2F
	v_mul_f32_e32 v134, s47, v134                              // 000000007B44: 0B0D0C2F
	v_mul_f32_e32 v135, s47, v135                              // 000000007B48: 0B0F0E2F
	v_mul_f32_e32 v136, s47, v136                              // 000000007B4C: 0B11102F
	v_mul_f32_e32 v137, s47, v137                              // 000000007B50: 0B13122F
	v_mul_f32_e32 v138, s47, v138                              // 000000007B54: 0B15142F
	v_mul_f32_e32 v139, s47, v139                              // 000000007B58: 0B17162F
	v_mul_f32_e32 v140, s47, v140                              // 000000007B5C: 0B19182F
	v_mul_f32_e32 v141, s47, v141                              // 000000007B60: 0B1B1A2F
	v_mul_f32_e32 v142, s47, v142                              // 000000007B64: 0B1D1C2F
	v_mul_f32_e32 v143, s47, v143                              // 000000007B68: 0B1F1E2F
	ds_write_b64 v20, v[132:133] offset:28416                  // 000000007B6C: D89A6F00 00008414
	ds_write_b64 v20, v[134:135] offset:28928                  // 000000007B74: D89A7100 00008614
	ds_write_b64 v20, v[136:137] offset:29440                  // 000000007B7C: D89A7300 00008814
	ds_write_b64 v20, v[138:139] offset:29952                  // 000000007B84: D89A7500 00008A14
	ds_write_b64 v20, v[140:141] offset:30464                  // 000000007B8C: D89A7700 00008C14
	ds_write_b64 v20, v[142:143] offset:30976                  // 000000007B94: D89A7900 00008E14
	s_waitcnt lgkmcnt(0)                                       // 000000007B9C: BF8CC07F
	s_barrier                                                  // 000000007BA0: BF8A0000
	ds_read_b64 v[144:145], v19 offset:28416                   // 000000007BA4: D8EC6F00 90000013
	ds_read_b64 v[146:147], v19 offset:30464                   // 000000007BAC: D8EC7700 92000013
	ds_read_b64 v[148:149], v19 offset:32512                   // 000000007BB4: D8EC7F00 94000013
	ds_read_b64 v[150:151], v19 offset:34560                   // 000000007BBC: D8EC8700 96000013
	ds_read_b64 v[152:153], v19 offset:36608                   // 000000007BC4: D8EC8F00 98000013
	ds_read_b64 v[154:155], v19 offset:38656                   // 000000007BCC: D8EC9700 9A000013
	s_waitcnt lgkmcnt(0)                                       // 000000007BD4: BF8CC07F
	s_barrier                                                  // 000000007BD8: BF8A0000
	buffer_atomic_add_f32 v144, v7, s[32:35], 0 offen          // 000000007BDC: E1341000 80089007
	buffer_atomic_add_f32 v145, v8, s[32:35], 0 offen          // 000000007BE4: E1341000 80089108
	buffer_atomic_add_f32 v146, v7, s[32:35], 0 offen offset:128// 000000007BEC: E1341080 80089207
	buffer_atomic_add_f32 v147, v8, s[32:35], 0 offen offset:128// 000000007BF4: E1341080 80089308
	buffer_atomic_add_f32 v148, v7, s[32:35], 0 offen offset:256// 000000007BFC: E1341100 80089407
	buffer_atomic_add_f32 v149, v8, s[32:35], 0 offen offset:256// 000000007C04: E1341100 80089508
	buffer_atomic_add_f32 v150, v7, s[32:35], 0 offen offset:384// 000000007C0C: E1341180 80089607
	buffer_atomic_add_f32 v151, v8, s[32:35], 0 offen offset:384// 000000007C14: E1341180 80089708
	s_mov_b64 exec, s[94:95]                                   // 000000007C1C: BEFE015E
	buffer_atomic_add_f32 v152, v7, s[32:35], 0 offen offset:512// 000000007C20: E1341200 80089807
	s_mov_b32 exec_lo, -1                                      // 000000007C28: BEFE00C1
	s_mov_b32 exec_hi, -1                                      // 000000007C2C: BEFF00C1
	s_mov_b64 exec, s[94:95]                                   // 000000007C30: BEFE015E
	buffer_atomic_add_f32 v153, v8, s[32:35], 0 offen offset:512// 000000007C34: E1341200 80089908
	s_mov_b32 exec_lo, -1                                      // 000000007C3C: BEFE00C1
	s_mov_b32 exec_hi, -1                                      // 000000007C40: BEFF00C1
	s_mov_b64 exec, s[96:97]                                   // 000000007C44: BEFE0160
	buffer_atomic_add_f32 v154, v7, s[32:35], 0 offen offset:640// 000000007C48: E1341280 80089A07
	s_mov_b32 exec_lo, -1                                      // 000000007C50: BEFE00C1
	s_mov_b32 exec_hi, -1                                      // 000000007C54: BEFF00C1
	s_mov_b64 exec, s[96:97]                                   // 000000007C58: BEFE0160
	buffer_atomic_add_f32 v155, v8, s[32:35], 0 offen offset:640// 000000007C5C: E1341280 80089B08
	s_mov_b32 exec_lo, -1                                      // 000000007C64: BEFE00C1
	s_mov_b32 exec_hi, -1                                      // 000000007C68: BEFF00C1
	v_lshrrev_b32_e32 v28, 3, v0                               // 000000007C6C: 20380083
	v_mul_i32_i24_e32 v24, 2, v28                              // 000000007C70: 0C303882
	v_and_b32_e32 v28, 7, v0                                   // 000000007C74: 26380087
	v_mul_i32_i24_e32 v29, 0x44, v28                           // 000000007C78: 0C3A38FF 00000044
	v_add_u32_e32 v24, v29, v24                                // 000000007C80: 6830311D
	s_mul_i32 s60, s46, 0x660                                  // 000000007C84: 923CFF2E 00000660
	v_add_u32_e32 v24, s60, v24                                // 000000007C8C: 6830303C
	v_lshlrev_b32_e32 v24, 2, v24                              // 000000007C90: 24303082
	v_and_b32_e32 v28, 7, v0                                   // 000000007C94: 26380087
	v_mov_b32_e32 v29, s98                                     // 000000007C98: 7E3A0262
	v_mov_b32_e32 v30, 0x80                                    // 000000007C9C: 7E3C02FF 00000080
	v_sub_u32_e32 v29, v29, v30                                // 000000007CA4: 6A3A3D1D
	v_lshrrev_b32_e32 v29, 3, v29                              // 000000007CA8: 203A3A83
	v_cmp_lt_u32_e64 s[92:93], v28, v29                        // 000000007CAC: D0C9005C 00023B1C
	v_accvgpr_read_b32 v30, a96                                // 000000007CB4: D3D8401E 18000160
	v_accvgpr_read_b32 v31, a97                                // 000000007CBC: D3D8401F 18000161
	v_mul_f32_e32 v30, s47, v30                                // 000000007CC4: 0A3C3C2F
	v_mul_f32_e32 v31, s47, v31                                // 000000007CC8: 0A3E3E2F
	v_cmp_u_f32_e64 s[78:79], v30, v30                         // 000000007CCC: D048004E 00023D1E
	v_bfe_u32 v208, v30, 16, 1                                 // 000000007CD4: D1C800D0 0205211E
	v_add3_u32 v208, v30, v208, v211                           // 000000007CDC: D1FF00D0 074FA11E
	v_cndmask_b32_e64 v28, v208, v210, s[78:79]                // 000000007CE4: D100001C 013BA5D0
	v_lshrrev_b32_e32 v28, 16, v28                             // 000000007CEC: 20383890
	v_cmp_u_f32_e64 s[78:79], v31, v31                         // 000000007CF0: D048004E 00023F1F
	v_bfe_u32 v208, v31, 16, 1                                 // 000000007CF8: D1C800D0 0205211F
	v_add3_u32 v208, v31, v208, v211                           // 000000007D00: D1FF00D0 074FA11F
	v_cndmask_b32_e64 v29, v208, v210, s[78:79]                // 000000007D08: D100001D 013BA5D0
	v_and_or_b32 v56, v29, v209, v28                           // 000000007D10: D2010038 0473A31D
	v_accvgpr_read_b32 v30, a98                                // 000000007D18: D3D8401E 18000162
	v_accvgpr_read_b32 v31, a99                                // 000000007D20: D3D8401F 18000163
	v_mul_f32_e32 v30, s47, v30                                // 000000007D28: 0A3C3C2F
	v_mul_f32_e32 v31, s47, v31                                // 000000007D2C: 0A3E3E2F
	v_cmp_u_f32_e64 s[78:79], v30, v30                         // 000000007D30: D048004E 00023D1E
	v_bfe_u32 v208, v30, 16, 1                                 // 000000007D38: D1C800D0 0205211E
	v_add3_u32 v208, v30, v208, v211                           // 000000007D40: D1FF00D0 074FA11E
	v_cndmask_b32_e64 v28, v208, v210, s[78:79]                // 000000007D48: D100001C 013BA5D0
	v_lshrrev_b32_e32 v28, 16, v28                             // 000000007D50: 20383890
	v_cmp_u_f32_e64 s[78:79], v31, v31                         // 000000007D54: D048004E 00023F1F
	v_bfe_u32 v208, v31, 16, 1                                 // 000000007D5C: D1C800D0 0205211F
	v_add3_u32 v208, v31, v208, v211                           // 000000007D64: D1FF00D0 074FA11F
	v_cndmask_b32_e64 v29, v208, v210, s[78:79]                // 000000007D6C: D100001D 013BA5D0
	v_and_or_b32 v57, v29, v209, v28                           // 000000007D74: D2010039 0473A31D
	v_accvgpr_read_b32 v30, a100                               // 000000007D7C: D3D8401E 18000164
	v_accvgpr_read_b32 v31, a101                               // 000000007D84: D3D8401F 18000165
	v_mul_f32_e32 v30, s47, v30                                // 000000007D8C: 0A3C3C2F
	v_mul_f32_e32 v31, s47, v31                                // 000000007D90: 0A3E3E2F
	v_cmp_u_f32_e64 s[78:79], v30, v30                         // 000000007D94: D048004E 00023D1E
	v_bfe_u32 v208, v30, 16, 1                                 // 000000007D9C: D1C800D0 0205211E
	v_add3_u32 v208, v30, v208, v211                           // 000000007DA4: D1FF00D0 074FA11E
	v_cndmask_b32_e64 v28, v208, v210, s[78:79]                // 000000007DAC: D100001C 013BA5D0
	v_lshrrev_b32_e32 v28, 16, v28                             // 000000007DB4: 20383890
	v_cmp_u_f32_e64 s[78:79], v31, v31                         // 000000007DB8: D048004E 00023F1F
	v_bfe_u32 v208, v31, 16, 1                                 // 000000007DC0: D1C800D0 0205211F
	v_add3_u32 v208, v31, v208, v211                           // 000000007DC8: D1FF00D0 074FA11F
	v_cndmask_b32_e64 v29, v208, v210, s[78:79]                // 000000007DD0: D100001D 013BA5D0
	v_and_or_b32 v58, v29, v209, v28                           // 000000007DD8: D201003A 0473A31D
	v_accvgpr_read_b32 v30, a102                               // 000000007DE0: D3D8401E 18000166
	v_accvgpr_read_b32 v31, a103                               // 000000007DE8: D3D8401F 18000167
	v_mul_f32_e32 v30, s47, v30                                // 000000007DF0: 0A3C3C2F
	v_mul_f32_e32 v31, s47, v31                                // 000000007DF4: 0A3E3E2F
	v_cmp_u_f32_e64 s[78:79], v30, v30                         // 000000007DF8: D048004E 00023D1E
	v_bfe_u32 v208, v30, 16, 1                                 // 000000007E00: D1C800D0 0205211E
	v_add3_u32 v208, v30, v208, v211                           // 000000007E08: D1FF00D0 074FA11E
	v_cndmask_b32_e64 v28, v208, v210, s[78:79]                // 000000007E10: D100001C 013BA5D0
	v_lshrrev_b32_e32 v28, 16, v28                             // 000000007E18: 20383890
	v_cmp_u_f32_e64 s[78:79], v31, v31                         // 000000007E1C: D048004E 00023F1F
	v_bfe_u32 v208, v31, 16, 1                                 // 000000007E24: D1C800D0 0205211F
	v_add3_u32 v208, v31, v208, v211                           // 000000007E2C: D1FF00D0 074FA11F
	v_cndmask_b32_e64 v29, v208, v210, s[78:79]                // 000000007E34: D100001D 013BA5D0
	v_and_or_b32 v59, v29, v209, v28                           // 000000007E3C: D201003B 0473A31D
	v_accvgpr_read_b32 v30, a104                               // 000000007E44: D3D8401E 18000168
	v_accvgpr_read_b32 v31, a105                               // 000000007E4C: D3D8401F 18000169
	v_mul_f32_e32 v30, s47, v30                                // 000000007E54: 0A3C3C2F
	v_mul_f32_e32 v31, s47, v31                                // 000000007E58: 0A3E3E2F
	v_cmp_u_f32_e64 s[78:79], v30, v30                         // 000000007E5C: D048004E 00023D1E
	v_bfe_u32 v208, v30, 16, 1                                 // 000000007E64: D1C800D0 0205211E
	v_add3_u32 v208, v30, v208, v211                           // 000000007E6C: D1FF00D0 074FA11E
	v_cndmask_b32_e64 v28, v208, v210, s[78:79]                // 000000007E74: D100001C 013BA5D0
	v_lshrrev_b32_e32 v28, 16, v28                             // 000000007E7C: 20383890
	v_cmp_u_f32_e64 s[78:79], v31, v31                         // 000000007E80: D048004E 00023F1F
	v_bfe_u32 v208, v31, 16, 1                                 // 000000007E88: D1C800D0 0205211F
	v_add3_u32 v208, v31, v208, v211                           // 000000007E90: D1FF00D0 074FA11F
	v_cndmask_b32_e64 v29, v208, v210, s[78:79]                // 000000007E98: D100001D 013BA5D0
	v_and_or_b32 v60, v29, v209, v28                           // 000000007EA0: D201003C 0473A31D
	v_accvgpr_read_b32 v30, a106                               // 000000007EA8: D3D8401E 1800016A
	v_accvgpr_read_b32 v31, a107                               // 000000007EB0: D3D8401F 1800016B
	v_mul_f32_e32 v30, s47, v30                                // 000000007EB8: 0A3C3C2F
	v_mul_f32_e32 v31, s47, v31                                // 000000007EBC: 0A3E3E2F
	v_cmp_u_f32_e64 s[78:79], v30, v30                         // 000000007EC0: D048004E 00023D1E
	v_bfe_u32 v208, v30, 16, 1                                 // 000000007EC8: D1C800D0 0205211E
	v_add3_u32 v208, v30, v208, v211                           // 000000007ED0: D1FF00D0 074FA11E
	v_cndmask_b32_e64 v28, v208, v210, s[78:79]                // 000000007ED8: D100001C 013BA5D0
	v_lshrrev_b32_e32 v28, 16, v28                             // 000000007EE0: 20383890
	v_cmp_u_f32_e64 s[78:79], v31, v31                         // 000000007EE4: D048004E 00023F1F
	v_bfe_u32 v208, v31, 16, 1                                 // 000000007EEC: D1C800D0 0205211F
	v_add3_u32 v208, v31, v208, v211                           // 000000007EF4: D1FF00D0 074FA11F
	v_cndmask_b32_e64 v29, v208, v210, s[78:79]                // 000000007EFC: D100001D 013BA5D0
	v_and_or_b32 v61, v29, v209, v28                           // 000000007F04: D201003D 0473A31D
	v_accvgpr_read_b32 v30, a108                               // 000000007F0C: D3D8401E 1800016C
	v_accvgpr_read_b32 v31, a109                               // 000000007F14: D3D8401F 1800016D
	v_mul_f32_e32 v30, s47, v30                                // 000000007F1C: 0A3C3C2F
	v_mul_f32_e32 v31, s47, v31                                // 000000007F20: 0A3E3E2F
	v_cmp_u_f32_e64 s[78:79], v30, v30                         // 000000007F24: D048004E 00023D1E
	v_bfe_u32 v208, v30, 16, 1                                 // 000000007F2C: D1C800D0 0205211E
	v_add3_u32 v208, v30, v208, v211                           // 000000007F34: D1FF00D0 074FA11E
	v_cndmask_b32_e64 v28, v208, v210, s[78:79]                // 000000007F3C: D100001C 013BA5D0
	v_lshrrev_b32_e32 v28, 16, v28                             // 000000007F44: 20383890
	v_cmp_u_f32_e64 s[78:79], v31, v31                         // 000000007F48: D048004E 00023F1F
	v_bfe_u32 v208, v31, 16, 1                                 // 000000007F50: D1C800D0 0205211F
	v_add3_u32 v208, v31, v208, v211                           // 000000007F58: D1FF00D0 074FA11F
	v_cndmask_b32_e64 v29, v208, v210, s[78:79]                // 000000007F60: D100001D 013BA5D0
	v_and_or_b32 v62, v29, v209, v28                           // 000000007F68: D201003E 0473A31D
	v_accvgpr_read_b32 v30, a110                               // 000000007F70: D3D8401E 1800016E
	v_accvgpr_read_b32 v31, a111                               // 000000007F78: D3D8401F 1800016F
	v_mul_f32_e32 v30, s47, v30                                // 000000007F80: 0A3C3C2F
	v_mul_f32_e32 v31, s47, v31                                // 000000007F84: 0A3E3E2F
	v_cmp_u_f32_e64 s[78:79], v30, v30                         // 000000007F88: D048004E 00023D1E
	v_bfe_u32 v208, v30, 16, 1                                 // 000000007F90: D1C800D0 0205211E
	v_add3_u32 v208, v30, v208, v211                           // 000000007F98: D1FF00D0 074FA11E
	v_cndmask_b32_e64 v28, v208, v210, s[78:79]                // 000000007FA0: D100001C 013BA5D0
	v_lshrrev_b32_e32 v28, 16, v28                             // 000000007FA8: 20383890
	v_cmp_u_f32_e64 s[78:79], v31, v31                         // 000000007FAC: D048004E 00023F1F
	v_bfe_u32 v208, v31, 16, 1                                 // 000000007FB4: D1C800D0 0205211F
	v_add3_u32 v208, v31, v208, v211                           // 000000007FBC: D1FF00D0 074FA11F
	v_cndmask_b32_e64 v29, v208, v210, s[78:79]                // 000000007FC4: D100001D 013BA5D0
	v_and_or_b32 v63, v29, v209, v28                           // 000000007FCC: D201003F 0473A31D
	v_accvgpr_read_b32 v30, a112                               // 000000007FD4: D3D8401E 18000170
	v_accvgpr_read_b32 v31, a113                               // 000000007FDC: D3D8401F 18000171
	v_mul_f32_e32 v30, s47, v30                                // 000000007FE4: 0A3C3C2F
	v_mul_f32_e32 v31, s47, v31                                // 000000007FE8: 0A3E3E2F
	v_cmp_u_f32_e64 s[78:79], v30, v30                         // 000000007FEC: D048004E 00023D1E
	v_bfe_u32 v208, v30, 16, 1                                 // 000000007FF4: D1C800D0 0205211E
	v_add3_u32 v208, v30, v208, v211                           // 000000007FFC: D1FF00D0 074FA11E
	v_cndmask_b32_e64 v28, v208, v210, s[78:79]                // 000000008004: D100001C 013BA5D0
	v_lshrrev_b32_e32 v28, 16, v28                             // 00000000800C: 20383890
	v_cmp_u_f32_e64 s[78:79], v31, v31                         // 000000008010: D048004E 00023F1F
	v_bfe_u32 v208, v31, 16, 1                                 // 000000008018: D1C800D0 0205211F
	v_add3_u32 v208, v31, v208, v211                           // 000000008020: D1FF00D0 074FA11F
	v_cndmask_b32_e64 v29, v208, v210, s[78:79]                // 000000008028: D100001D 013BA5D0
	v_and_or_b32 v64, v29, v209, v28                           // 000000008030: D2010040 0473A31D
	v_accvgpr_read_b32 v30, a114                               // 000000008038: D3D8401E 18000172
	v_accvgpr_read_b32 v31, a115                               // 000000008040: D3D8401F 18000173
	v_mul_f32_e32 v30, s47, v30                                // 000000008048: 0A3C3C2F
	v_mul_f32_e32 v31, s47, v31                                // 00000000804C: 0A3E3E2F
	v_cmp_u_f32_e64 s[78:79], v30, v30                         // 000000008050: D048004E 00023D1E
	v_bfe_u32 v208, v30, 16, 1                                 // 000000008058: D1C800D0 0205211E
	v_add3_u32 v208, v30, v208, v211                           // 000000008060: D1FF00D0 074FA11E
	v_cndmask_b32_e64 v28, v208, v210, s[78:79]                // 000000008068: D100001C 013BA5D0
	v_lshrrev_b32_e32 v28, 16, v28                             // 000000008070: 20383890
	v_cmp_u_f32_e64 s[78:79], v31, v31                         // 000000008074: D048004E 00023F1F
	v_bfe_u32 v208, v31, 16, 1                                 // 00000000807C: D1C800D0 0205211F
	v_add3_u32 v208, v31, v208, v211                           // 000000008084: D1FF00D0 074FA11F
	v_cndmask_b32_e64 v29, v208, v210, s[78:79]                // 00000000808C: D100001D 013BA5D0
	v_and_or_b32 v65, v29, v209, v28                           // 000000008094: D2010041 0473A31D
	v_accvgpr_read_b32 v30, a116                               // 00000000809C: D3D8401E 18000174
	v_accvgpr_read_b32 v31, a117                               // 0000000080A4: D3D8401F 18000175
	v_mul_f32_e32 v30, s47, v30                                // 0000000080AC: 0A3C3C2F
	v_mul_f32_e32 v31, s47, v31                                // 0000000080B0: 0A3E3E2F
	v_cmp_u_f32_e64 s[78:79], v30, v30                         // 0000000080B4: D048004E 00023D1E
	v_bfe_u32 v208, v30, 16, 1                                 // 0000000080BC: D1C800D0 0205211E
	v_add3_u32 v208, v30, v208, v211                           // 0000000080C4: D1FF00D0 074FA11E
	v_cndmask_b32_e64 v28, v208, v210, s[78:79]                // 0000000080CC: D100001C 013BA5D0
	v_lshrrev_b32_e32 v28, 16, v28                             // 0000000080D4: 20383890
	v_cmp_u_f32_e64 s[78:79], v31, v31                         // 0000000080D8: D048004E 00023F1F
	v_bfe_u32 v208, v31, 16, 1                                 // 0000000080E0: D1C800D0 0205211F
	v_add3_u32 v208, v31, v208, v211                           // 0000000080E8: D1FF00D0 074FA11F
	v_cndmask_b32_e64 v29, v208, v210, s[78:79]                // 0000000080F0: D100001D 013BA5D0
	v_and_or_b32 v66, v29, v209, v28                           // 0000000080F8: D2010042 0473A31D
	v_accvgpr_read_b32 v30, a118                               // 000000008100: D3D8401E 18000176
	v_accvgpr_read_b32 v31, a119                               // 000000008108: D3D8401F 18000177
	v_mul_f32_e32 v30, s47, v30                                // 000000008110: 0A3C3C2F
	v_mul_f32_e32 v31, s47, v31                                // 000000008114: 0A3E3E2F
	v_cmp_u_f32_e64 s[78:79], v30, v30                         // 000000008118: D048004E 00023D1E
	v_bfe_u32 v208, v30, 16, 1                                 // 000000008120: D1C800D0 0205211E
	v_add3_u32 v208, v30, v208, v211                           // 000000008128: D1FF00D0 074FA11E
	v_cndmask_b32_e64 v28, v208, v210, s[78:79]                // 000000008130: D100001C 013BA5D0
	v_lshrrev_b32_e32 v28, 16, v28                             // 000000008138: 20383890
	v_cmp_u_f32_e64 s[78:79], v31, v31                         // 00000000813C: D048004E 00023F1F
	v_bfe_u32 v208, v31, 16, 1                                 // 000000008144: D1C800D0 0205211F
	v_add3_u32 v208, v31, v208, v211                           // 00000000814C: D1FF00D0 074FA11F
	v_cndmask_b32_e64 v29, v208, v210, s[78:79]                // 000000008154: D100001D 013BA5D0
	v_and_or_b32 v67, v29, v209, v28                           // 00000000815C: D2010043 0473A31D
	v_accvgpr_read_b32 v30, a120                               // 000000008164: D3D8401E 18000178
	v_accvgpr_read_b32 v31, a121                               // 00000000816C: D3D8401F 18000179
	v_mul_f32_e32 v30, s47, v30                                // 000000008174: 0A3C3C2F
	v_mul_f32_e32 v31, s47, v31                                // 000000008178: 0A3E3E2F
	v_cmp_u_f32_e64 s[78:79], v30, v30                         // 00000000817C: D048004E 00023D1E
	v_bfe_u32 v208, v30, 16, 1                                 // 000000008184: D1C800D0 0205211E
	v_add3_u32 v208, v30, v208, v211                           // 00000000818C: D1FF00D0 074FA11E
	v_cndmask_b32_e64 v28, v208, v210, s[78:79]                // 000000008194: D100001C 013BA5D0
	v_lshrrev_b32_e32 v28, 16, v28                             // 00000000819C: 20383890
	v_cmp_u_f32_e64 s[78:79], v31, v31                         // 0000000081A0: D048004E 00023F1F
	v_bfe_u32 v208, v31, 16, 1                                 // 0000000081A8: D1C800D0 0205211F
	v_add3_u32 v208, v31, v208, v211                           // 0000000081B0: D1FF00D0 074FA11F
	v_cndmask_b32_e64 v29, v208, v210, s[78:79]                // 0000000081B8: D100001D 013BA5D0
	v_and_or_b32 v68, v29, v209, v28                           // 0000000081C0: D2010044 0473A31D
	v_accvgpr_read_b32 v30, a122                               // 0000000081C8: D3D8401E 1800017A
	v_accvgpr_read_b32 v31, a123                               // 0000000081D0: D3D8401F 1800017B
	v_mul_f32_e32 v30, s47, v30                                // 0000000081D8: 0A3C3C2F
	v_mul_f32_e32 v31, s47, v31                                // 0000000081DC: 0A3E3E2F
	v_cmp_u_f32_e64 s[78:79], v30, v30                         // 0000000081E0: D048004E 00023D1E
	v_bfe_u32 v208, v30, 16, 1                                 // 0000000081E8: D1C800D0 0205211E
	v_add3_u32 v208, v30, v208, v211                           // 0000000081F0: D1FF00D0 074FA11E
	v_cndmask_b32_e64 v28, v208, v210, s[78:79]                // 0000000081F8: D100001C 013BA5D0
	v_lshrrev_b32_e32 v28, 16, v28                             // 000000008200: 20383890
	v_cmp_u_f32_e64 s[78:79], v31, v31                         // 000000008204: D048004E 00023F1F
	v_bfe_u32 v208, v31, 16, 1                                 // 00000000820C: D1C800D0 0205211F
	v_add3_u32 v208, v31, v208, v211                           // 000000008214: D1FF00D0 074FA11F
	v_cndmask_b32_e64 v29, v208, v210, s[78:79]                // 00000000821C: D100001D 013BA5D0
	v_and_or_b32 v69, v29, v209, v28                           // 000000008224: D2010045 0473A31D
	v_accvgpr_read_b32 v30, a124                               // 00000000822C: D3D8401E 1800017C
	v_accvgpr_read_b32 v31, a125                               // 000000008234: D3D8401F 1800017D
	v_mul_f32_e32 v30, s47, v30                                // 00000000823C: 0A3C3C2F
	v_mul_f32_e32 v31, s47, v31                                // 000000008240: 0A3E3E2F
	v_cmp_u_f32_e64 s[78:79], v30, v30                         // 000000008244: D048004E 00023D1E
	v_bfe_u32 v208, v30, 16, 1                                 // 00000000824C: D1C800D0 0205211E
	v_add3_u32 v208, v30, v208, v211                           // 000000008254: D1FF00D0 074FA11E
	v_cndmask_b32_e64 v28, v208, v210, s[78:79]                // 00000000825C: D100001C 013BA5D0
	v_lshrrev_b32_e32 v28, 16, v28                             // 000000008264: 20383890
	v_cmp_u_f32_e64 s[78:79], v31, v31                         // 000000008268: D048004E 00023F1F
	v_bfe_u32 v208, v31, 16, 1                                 // 000000008270: D1C800D0 0205211F
	v_add3_u32 v208, v31, v208, v211                           // 000000008278: D1FF00D0 074FA11F
	v_cndmask_b32_e64 v29, v208, v210, s[78:79]                // 000000008280: D100001D 013BA5D0
	v_and_or_b32 v70, v29, v209, v28                           // 000000008288: D2010046 0473A31D
	v_accvgpr_read_b32 v30, a126                               // 000000008290: D3D8401E 1800017E
	v_accvgpr_read_b32 v31, a127                               // 000000008298: D3D8401F 1800017F
	v_mul_f32_e32 v30, s47, v30                                // 0000000082A0: 0A3C3C2F
	v_mul_f32_e32 v31, s47, v31                                // 0000000082A4: 0A3E3E2F
	v_cmp_u_f32_e64 s[78:79], v30, v30                         // 0000000082A8: D048004E 00023D1E
	v_bfe_u32 v208, v30, 16, 1                                 // 0000000082B0: D1C800D0 0205211E
	v_add3_u32 v208, v30, v208, v211                           // 0000000082B8: D1FF00D0 074FA11E
	v_cndmask_b32_e64 v28, v208, v210, s[78:79]                // 0000000082C0: D100001C 013BA5D0
	v_lshrrev_b32_e32 v28, 16, v28                             // 0000000082C8: 20383890
	v_cmp_u_f32_e64 s[78:79], v31, v31                         // 0000000082CC: D048004E 00023F1F
	v_bfe_u32 v208, v31, 16, 1                                 // 0000000082D4: D1C800D0 0205211F
	v_add3_u32 v208, v31, v208, v211                           // 0000000082DC: D1FF00D0 074FA11F
	v_cndmask_b32_e64 v29, v208, v210, s[78:79]                // 0000000082E4: D100001D 013BA5D0
	v_and_or_b32 v71, v29, v209, v28                           // 0000000082EC: D2010047 0473A31D
	v_accvgpr_read_b32 v30, a128                               // 0000000082F4: D3D8401E 18000180
	v_accvgpr_read_b32 v31, a129                               // 0000000082FC: D3D8401F 18000181
	v_mul_f32_e32 v30, s47, v30                                // 000000008304: 0A3C3C2F
	v_mul_f32_e32 v31, s47, v31                                // 000000008308: 0A3E3E2F
	v_cmp_u_f32_e64 s[78:79], v30, v30                         // 00000000830C: D048004E 00023D1E
	v_bfe_u32 v208, v30, 16, 1                                 // 000000008314: D1C800D0 0205211E
	v_add3_u32 v208, v30, v208, v211                           // 00000000831C: D1FF00D0 074FA11E
	v_cndmask_b32_e64 v28, v208, v210, s[78:79]                // 000000008324: D100001C 013BA5D0
	v_lshrrev_b32_e32 v28, 16, v28                             // 00000000832C: 20383890
	v_cmp_u_f32_e64 s[78:79], v31, v31                         // 000000008330: D048004E 00023F1F
	v_bfe_u32 v208, v31, 16, 1                                 // 000000008338: D1C800D0 0205211F
	v_add3_u32 v208, v31, v208, v211                           // 000000008340: D1FF00D0 074FA11F
	v_cndmask_b32_e64 v29, v208, v210, s[78:79]                // 000000008348: D100001D 013BA5D0
	v_and_or_b32 v72, v29, v209, v28                           // 000000008350: D2010048 0473A31D
	v_accvgpr_read_b32 v30, a130                               // 000000008358: D3D8401E 18000182
	v_accvgpr_read_b32 v31, a131                               // 000000008360: D3D8401F 18000183
	v_mul_f32_e32 v30, s47, v30                                // 000000008368: 0A3C3C2F
	v_mul_f32_e32 v31, s47, v31                                // 00000000836C: 0A3E3E2F
	v_cmp_u_f32_e64 s[78:79], v30, v30                         // 000000008370: D048004E 00023D1E
	v_bfe_u32 v208, v30, 16, 1                                 // 000000008378: D1C800D0 0205211E
	v_add3_u32 v208, v30, v208, v211                           // 000000008380: D1FF00D0 074FA11E
	v_cndmask_b32_e64 v28, v208, v210, s[78:79]                // 000000008388: D100001C 013BA5D0
	v_lshrrev_b32_e32 v28, 16, v28                             // 000000008390: 20383890
	v_cmp_u_f32_e64 s[78:79], v31, v31                         // 000000008394: D048004E 00023F1F
	v_bfe_u32 v208, v31, 16, 1                                 // 00000000839C: D1C800D0 0205211F
	v_add3_u32 v208, v31, v208, v211                           // 0000000083A4: D1FF00D0 074FA11F
	v_cndmask_b32_e64 v29, v208, v210, s[78:79]                // 0000000083AC: D100001D 013BA5D0
	v_and_or_b32 v73, v29, v209, v28                           // 0000000083B4: D2010049 0473A31D
	v_accvgpr_read_b32 v30, a132                               // 0000000083BC: D3D8401E 18000184
	v_accvgpr_read_b32 v31, a133                               // 0000000083C4: D3D8401F 18000185
	v_mul_f32_e32 v30, s47, v30                                // 0000000083CC: 0A3C3C2F
	v_mul_f32_e32 v31, s47, v31                                // 0000000083D0: 0A3E3E2F
	v_cmp_u_f32_e64 s[78:79], v30, v30                         // 0000000083D4: D048004E 00023D1E
	v_bfe_u32 v208, v30, 16, 1                                 // 0000000083DC: D1C800D0 0205211E
	v_add3_u32 v208, v30, v208, v211                           // 0000000083E4: D1FF00D0 074FA11E
	v_cndmask_b32_e64 v28, v208, v210, s[78:79]                // 0000000083EC: D100001C 013BA5D0
	v_lshrrev_b32_e32 v28, 16, v28                             // 0000000083F4: 20383890
	v_cmp_u_f32_e64 s[78:79], v31, v31                         // 0000000083F8: D048004E 00023F1F
	v_bfe_u32 v208, v31, 16, 1                                 // 000000008400: D1C800D0 0205211F
	v_add3_u32 v208, v31, v208, v211                           // 000000008408: D1FF00D0 074FA11F
	v_cndmask_b32_e64 v29, v208, v210, s[78:79]                // 000000008410: D100001D 013BA5D0
	v_and_or_b32 v74, v29, v209, v28                           // 000000008418: D201004A 0473A31D
	v_accvgpr_read_b32 v30, a134                               // 000000008420: D3D8401E 18000186
	v_accvgpr_read_b32 v31, a135                               // 000000008428: D3D8401F 18000187
	v_mul_f32_e32 v30, s47, v30                                // 000000008430: 0A3C3C2F
	v_mul_f32_e32 v31, s47, v31                                // 000000008434: 0A3E3E2F
	v_cmp_u_f32_e64 s[78:79], v30, v30                         // 000000008438: D048004E 00023D1E
	v_bfe_u32 v208, v30, 16, 1                                 // 000000008440: D1C800D0 0205211E
	v_add3_u32 v208, v30, v208, v211                           // 000000008448: D1FF00D0 074FA11E
	v_cndmask_b32_e64 v28, v208, v210, s[78:79]                // 000000008450: D100001C 013BA5D0
	v_lshrrev_b32_e32 v28, 16, v28                             // 000000008458: 20383890
	v_cmp_u_f32_e64 s[78:79], v31, v31                         // 00000000845C: D048004E 00023F1F
	v_bfe_u32 v208, v31, 16, 1                                 // 000000008464: D1C800D0 0205211F
	v_add3_u32 v208, v31, v208, v211                           // 00000000846C: D1FF00D0 074FA11F
	v_cndmask_b32_e64 v29, v208, v210, s[78:79]                // 000000008474: D100001D 013BA5D0
	v_and_or_b32 v75, v29, v209, v28                           // 00000000847C: D201004B 0473A31D
	v_accvgpr_read_b32 v30, a136                               // 000000008484: D3D8401E 18000188
	v_accvgpr_read_b32 v31, a137                               // 00000000848C: D3D8401F 18000189
	v_mul_f32_e32 v30, s47, v30                                // 000000008494: 0A3C3C2F
	v_mul_f32_e32 v31, s47, v31                                // 000000008498: 0A3E3E2F
	v_cmp_u_f32_e64 s[78:79], v30, v30                         // 00000000849C: D048004E 00023D1E
	v_bfe_u32 v208, v30, 16, 1                                 // 0000000084A4: D1C800D0 0205211E
	v_add3_u32 v208, v30, v208, v211                           // 0000000084AC: D1FF00D0 074FA11E
	v_cndmask_b32_e64 v28, v208, v210, s[78:79]                // 0000000084B4: D100001C 013BA5D0
	v_lshrrev_b32_e32 v28, 16, v28                             // 0000000084BC: 20383890
	v_cmp_u_f32_e64 s[78:79], v31, v31                         // 0000000084C0: D048004E 00023F1F
	v_bfe_u32 v208, v31, 16, 1                                 // 0000000084C8: D1C800D0 0205211F
	v_add3_u32 v208, v31, v208, v211                           // 0000000084D0: D1FF00D0 074FA11F
	v_cndmask_b32_e64 v29, v208, v210, s[78:79]                // 0000000084D8: D100001D 013BA5D0
	v_and_or_b32 v76, v29, v209, v28                           // 0000000084E0: D201004C 0473A31D
	v_accvgpr_read_b32 v30, a138                               // 0000000084E8: D3D8401E 1800018A
	v_accvgpr_read_b32 v31, a139                               // 0000000084F0: D3D8401F 1800018B
	v_mul_f32_e32 v30, s47, v30                                // 0000000084F8: 0A3C3C2F
	v_mul_f32_e32 v31, s47, v31                                // 0000000084FC: 0A3E3E2F
	v_cmp_u_f32_e64 s[78:79], v30, v30                         // 000000008500: D048004E 00023D1E
	v_bfe_u32 v208, v30, 16, 1                                 // 000000008508: D1C800D0 0205211E
	v_add3_u32 v208, v30, v208, v211                           // 000000008510: D1FF00D0 074FA11E
	v_cndmask_b32_e64 v28, v208, v210, s[78:79]                // 000000008518: D100001C 013BA5D0
	v_lshrrev_b32_e32 v28, 16, v28                             // 000000008520: 20383890
	v_cmp_u_f32_e64 s[78:79], v31, v31                         // 000000008524: D048004E 00023F1F
	v_bfe_u32 v208, v31, 16, 1                                 // 00000000852C: D1C800D0 0205211F
	v_add3_u32 v208, v31, v208, v211                           // 000000008534: D1FF00D0 074FA11F
	v_cndmask_b32_e64 v29, v208, v210, s[78:79]                // 00000000853C: D100001D 013BA5D0
	v_and_or_b32 v77, v29, v209, v28                           // 000000008544: D201004D 0473A31D
	v_accvgpr_read_b32 v30, a140                               // 00000000854C: D3D8401E 1800018C
	v_accvgpr_read_b32 v31, a141                               // 000000008554: D3D8401F 1800018D
	v_mul_f32_e32 v30, s47, v30                                // 00000000855C: 0A3C3C2F
	v_mul_f32_e32 v31, s47, v31                                // 000000008560: 0A3E3E2F
	v_cmp_u_f32_e64 s[78:79], v30, v30                         // 000000008564: D048004E 00023D1E
	v_bfe_u32 v208, v30, 16, 1                                 // 00000000856C: D1C800D0 0205211E
	v_add3_u32 v208, v30, v208, v211                           // 000000008574: D1FF00D0 074FA11E
	v_cndmask_b32_e64 v28, v208, v210, s[78:79]                // 00000000857C: D100001C 013BA5D0
	v_lshrrev_b32_e32 v28, 16, v28                             // 000000008584: 20383890
	v_cmp_u_f32_e64 s[78:79], v31, v31                         // 000000008588: D048004E 00023F1F
	v_bfe_u32 v208, v31, 16, 1                                 // 000000008590: D1C800D0 0205211F
	v_add3_u32 v208, v31, v208, v211                           // 000000008598: D1FF00D0 074FA11F
	v_cndmask_b32_e64 v29, v208, v210, s[78:79]                // 0000000085A0: D100001D 013BA5D0
	v_and_or_b32 v78, v29, v209, v28                           // 0000000085A8: D201004E 0473A31D
	v_accvgpr_read_b32 v30, a142                               // 0000000085B0: D3D8401E 1800018E
	v_accvgpr_read_b32 v31, a143                               // 0000000085B8: D3D8401F 1800018F
	v_mul_f32_e32 v30, s47, v30                                // 0000000085C0: 0A3C3C2F
	v_mul_f32_e32 v31, s47, v31                                // 0000000085C4: 0A3E3E2F
	v_cmp_u_f32_e64 s[78:79], v30, v30                         // 0000000085C8: D048004E 00023D1E
	v_bfe_u32 v208, v30, 16, 1                                 // 0000000085D0: D1C800D0 0205211E
	v_add3_u32 v208, v30, v208, v211                           // 0000000085D8: D1FF00D0 074FA11E
	v_cndmask_b32_e64 v28, v208, v210, s[78:79]                // 0000000085E0: D100001C 013BA5D0
	v_lshrrev_b32_e32 v28, 16, v28                             // 0000000085E8: 20383890
	v_cmp_u_f32_e64 s[78:79], v31, v31                         // 0000000085EC: D048004E 00023F1F
	v_bfe_u32 v208, v31, 16, 1                                 // 0000000085F4: D1C800D0 0205211F
	v_add3_u32 v208, v31, v208, v211                           // 0000000085FC: D1FF00D0 074FA11F
	v_cndmask_b32_e64 v29, v208, v210, s[78:79]                // 000000008604: D100001D 013BA5D0
	v_and_or_b32 v79, v29, v209, v28                           // 00000000860C: D201004F 0473A31D
	ds_write_b64 v25, v[56:57]                                 // 000000008614: D89A0000 00003819
	ds_write_b64 v25, v[58:59] offset:544                      // 00000000861C: D89A0220 00003A19
	ds_write_b64 v25, v[60:61] offset:1088                     // 000000008624: D89A0440 00003C19
	ds_write_b64 v25, v[62:63] offset:1632                     // 00000000862C: D89A0660 00003E19
	ds_write_b64 v25, v[64:65] offset:2176                     // 000000008634: D89A0880 00004019
	ds_write_b64 v25, v[66:67] offset:2720                     // 00000000863C: D89A0AA0 00004219
	ds_write_b64 v25, v[68:69] offset:3264                     // 000000008644: D89A0CC0 00004419
	ds_write_b64 v25, v[70:71] offset:3808                     // 00000000864C: D89A0EE0 00004619
	ds_write_b64 v25, v[72:73] offset:4352                     // 000000008654: D89A1100 00004819
	ds_write_b64 v25, v[74:75] offset:4896                     // 00000000865C: D89A1320 00004A19
	ds_write_b64 v25, v[76:77] offset:5440                     // 000000008664: D89A1540 00004C19
	ds_write_b64 v25, v[78:79] offset:5984                     // 00000000866C: D89A1760 00004E19
	s_waitcnt lgkmcnt(0)                                       // 000000008674: BF8CC07F
	s_barrier                                                  // 000000008678: BF8A0000
	ds_read_b64 v[56:57], v24                                  // 00000000867C: D8EC0000 38000018
	ds_read_b64 v[58:59], v24 offset:128                       // 000000008684: D8EC0080 3A000018
	ds_read_b64 v[60:61], v24 offset:64                        // 00000000868C: D8EC0040 3C000018
	ds_read_b64 v[62:63], v24 offset:192                       // 000000008694: D8EC00C0 3E000018
	ds_read_b64 v[64:65], v24 offset:2176                      // 00000000869C: D8EC0880 40000018
	ds_read_b64 v[66:67], v24 offset:2304                      // 0000000086A4: D8EC0900 42000018
	ds_read_b64 v[68:69], v24 offset:2240                      // 0000000086AC: D8EC08C0 44000018
	ds_read_b64 v[70:71], v24 offset:2368                      // 0000000086B4: D8EC0940 46000018
	ds_read_b64 v[72:73], v24 offset:4352                      // 0000000086BC: D8EC1100 48000018
	ds_read_b64 v[74:75], v24 offset:4480                      // 0000000086C4: D8EC1180 4A000018
	ds_read_b64 v[76:77], v24 offset:4416                      // 0000000086CC: D8EC1140 4C000018
	ds_read_b64 v[78:79], v24 offset:4544                      // 0000000086D4: D8EC11C0 4E000018
	s_waitcnt lgkmcnt(0)                                       // 0000000086DC: BF8CC07F
	buffer_store_dwordx4 v[56:59], v3, s[36:39], 0 idxen       // 0000000086E0: E07C2000 80093803
	v_add_u32_e32 v3, 32, v3                                   // 0000000086E8: 680606A0
	buffer_store_dwordx4 v[60:63], v4, s[36:39], 0 idxen       // 0000000086EC: E07C2000 80093C04
	v_add_u32_e32 v4, 32, v4                                   // 0000000086F4: 680808A0
	buffer_store_dwordx4 v[64:67], v3, s[36:39], 0 idxen       // 0000000086F8: E07C2000 80094003
	v_add_u32_e32 v3, 32, v3                                   // 000000008700: 680606A0
	buffer_store_dwordx4 v[68:71], v4, s[36:39], 0 idxen       // 000000008704: E07C2000 80094404
	v_add_u32_e32 v4, 32, v4                                   // 00000000870C: 680808A0
	s_mov_b64 exec, s[92:93]                                   // 000000008710: BEFE015C
	buffer_store_dwordx4 v[72:75], v3, s[36:39], 0 idxen       // 000000008714: E07C2000 80094803
	s_mov_b32 exec_lo, -1                                      // 00000000871C: BEFE00C1
	s_mov_b32 exec_hi, -1                                      // 000000008720: BEFF00C1
	v_add_u32_e32 v3, 32, v3                                   // 000000008724: 680606A0
	s_mov_b64 exec, s[92:93]                                   // 000000008728: BEFE015C
	buffer_store_dwordx4 v[76:79], v4, s[36:39], 0 idxen       // 00000000872C: E07C2000 80094C04
	s_mov_b32 exec_lo, -1                                      // 000000008734: BEFE00C1
	s_mov_b32 exec_hi, -1                                      // 000000008738: BEFF00C1
	v_add_u32_e32 v4, 32, v4                                   // 00000000873C: 680808A0
	s_barrier                                                  // 000000008740: BF8A0000
	v_mov_b32_e32 v30, v160                                    // 000000008744: 7E3C03A0
	v_mov_b32_e32 v31, v161                                    // 000000008748: 7E3E03A1
	v_cmp_u_f32_e64 s[78:79], v30, v30                         // 00000000874C: D048004E 00023D1E
	v_bfe_u32 v208, v30, 16, 1                                 // 000000008754: D1C800D0 0205211E
	v_add3_u32 v208, v30, v208, v211                           // 00000000875C: D1FF00D0 074FA11E
	v_cndmask_b32_e64 v28, v208, v210, s[78:79]                // 000000008764: D100001C 013BA5D0
	v_lshrrev_b32_e32 v28, 16, v28                             // 00000000876C: 20383890
	v_cmp_u_f32_e64 s[78:79], v31, v31                         // 000000008770: D048004E 00023F1F
	v_bfe_u32 v208, v31, 16, 1                                 // 000000008778: D1C800D0 0205211F
	v_add3_u32 v208, v31, v208, v211                           // 000000008780: D1FF00D0 074FA11F
	v_cndmask_b32_e64 v29, v208, v210, s[78:79]                // 000000008788: D100001D 013BA5D0
	v_and_or_b32 v160, v29, v209, v28                          // 000000008790: D20100A0 0473A31D
	v_mov_b32_e32 v30, v162                                    // 000000008798: 7E3C03A2
	v_mov_b32_e32 v31, v163                                    // 00000000879C: 7E3E03A3
	v_cmp_u_f32_e64 s[78:79], v30, v30                         // 0000000087A0: D048004E 00023D1E
	v_bfe_u32 v208, v30, 16, 1                                 // 0000000087A8: D1C800D0 0205211E
	v_add3_u32 v208, v30, v208, v211                           // 0000000087B0: D1FF00D0 074FA11E
	v_cndmask_b32_e64 v28, v208, v210, s[78:79]                // 0000000087B8: D100001C 013BA5D0
	v_lshrrev_b32_e32 v28, 16, v28                             // 0000000087C0: 20383890
	v_cmp_u_f32_e64 s[78:79], v31, v31                         // 0000000087C4: D048004E 00023F1F
	v_bfe_u32 v208, v31, 16, 1                                 // 0000000087CC: D1C800D0 0205211F
	v_add3_u32 v208, v31, v208, v211                           // 0000000087D4: D1FF00D0 074FA11F
	v_cndmask_b32_e64 v29, v208, v210, s[78:79]                // 0000000087DC: D100001D 013BA5D0
	v_and_or_b32 v161, v29, v209, v28                          // 0000000087E4: D20100A1 0473A31D
	v_mov_b32_e32 v30, v164                                    // 0000000087EC: 7E3C03A4
	v_mov_b32_e32 v31, v165                                    // 0000000087F0: 7E3E03A5
	v_cmp_u_f32_e64 s[78:79], v30, v30                         // 0000000087F4: D048004E 00023D1E
	v_bfe_u32 v208, v30, 16, 1                                 // 0000000087FC: D1C800D0 0205211E
	v_add3_u32 v208, v30, v208, v211                           // 000000008804: D1FF00D0 074FA11E
	v_cndmask_b32_e64 v28, v208, v210, s[78:79]                // 00000000880C: D100001C 013BA5D0
	v_lshrrev_b32_e32 v28, 16, v28                             // 000000008814: 20383890
	v_cmp_u_f32_e64 s[78:79], v31, v31                         // 000000008818: D048004E 00023F1F
	v_bfe_u32 v208, v31, 16, 1                                 // 000000008820: D1C800D0 0205211F
	v_add3_u32 v208, v31, v208, v211                           // 000000008828: D1FF00D0 074FA11F
	v_cndmask_b32_e64 v29, v208, v210, s[78:79]                // 000000008830: D100001D 013BA5D0
	v_and_or_b32 v162, v29, v209, v28                          // 000000008838: D20100A2 0473A31D
	v_mov_b32_e32 v30, v166                                    // 000000008840: 7E3C03A6
	v_mov_b32_e32 v31, v167                                    // 000000008844: 7E3E03A7
	v_cmp_u_f32_e64 s[78:79], v30, v30                         // 000000008848: D048004E 00023D1E
	v_bfe_u32 v208, v30, 16, 1                                 // 000000008850: D1C800D0 0205211E
	v_add3_u32 v208, v30, v208, v211                           // 000000008858: D1FF00D0 074FA11E
	v_cndmask_b32_e64 v28, v208, v210, s[78:79]                // 000000008860: D100001C 013BA5D0
	v_lshrrev_b32_e32 v28, 16, v28                             // 000000008868: 20383890
	v_cmp_u_f32_e64 s[78:79], v31, v31                         // 00000000886C: D048004E 00023F1F
	v_bfe_u32 v208, v31, 16, 1                                 // 000000008874: D1C800D0 0205211F
	v_add3_u32 v208, v31, v208, v211                           // 00000000887C: D1FF00D0 074FA11F
	v_cndmask_b32_e64 v29, v208, v210, s[78:79]                // 000000008884: D100001D 013BA5D0
	v_and_or_b32 v163, v29, v209, v28                          // 00000000888C: D20100A3 0473A31D
	v_mov_b32_e32 v30, v168                                    // 000000008894: 7E3C03A8
	v_mov_b32_e32 v31, v169                                    // 000000008898: 7E3E03A9
	v_cmp_u_f32_e64 s[78:79], v30, v30                         // 00000000889C: D048004E 00023D1E
	v_bfe_u32 v208, v30, 16, 1                                 // 0000000088A4: D1C800D0 0205211E
	v_add3_u32 v208, v30, v208, v211                           // 0000000088AC: D1FF00D0 074FA11E
	v_cndmask_b32_e64 v28, v208, v210, s[78:79]                // 0000000088B4: D100001C 013BA5D0
	v_lshrrev_b32_e32 v28, 16, v28                             // 0000000088BC: 20383890
	v_cmp_u_f32_e64 s[78:79], v31, v31                         // 0000000088C0: D048004E 00023F1F
	v_bfe_u32 v208, v31, 16, 1                                 // 0000000088C8: D1C800D0 0205211F
	v_add3_u32 v208, v31, v208, v211                           // 0000000088D0: D1FF00D0 074FA11F
	v_cndmask_b32_e64 v29, v208, v210, s[78:79]                // 0000000088D8: D100001D 013BA5D0
	v_and_or_b32 v164, v29, v209, v28                          // 0000000088E0: D20100A4 0473A31D
	v_mov_b32_e32 v30, v170                                    // 0000000088E8: 7E3C03AA
	v_mov_b32_e32 v31, v171                                    // 0000000088EC: 7E3E03AB
	v_cmp_u_f32_e64 s[78:79], v30, v30                         // 0000000088F0: D048004E 00023D1E
	v_bfe_u32 v208, v30, 16, 1                                 // 0000000088F8: D1C800D0 0205211E
	v_add3_u32 v208, v30, v208, v211                           // 000000008900: D1FF00D0 074FA11E
	v_cndmask_b32_e64 v28, v208, v210, s[78:79]                // 000000008908: D100001C 013BA5D0
	v_lshrrev_b32_e32 v28, 16, v28                             // 000000008910: 20383890
	v_cmp_u_f32_e64 s[78:79], v31, v31                         // 000000008914: D048004E 00023F1F
	v_bfe_u32 v208, v31, 16, 1                                 // 00000000891C: D1C800D0 0205211F
	v_add3_u32 v208, v31, v208, v211                           // 000000008924: D1FF00D0 074FA11F
	v_cndmask_b32_e64 v29, v208, v210, s[78:79]                // 00000000892C: D100001D 013BA5D0
	v_and_or_b32 v165, v29, v209, v28                          // 000000008934: D20100A5 0473A31D
	v_mov_b32_e32 v30, v172                                    // 00000000893C: 7E3C03AC
	v_mov_b32_e32 v31, v173                                    // 000000008940: 7E3E03AD
	v_cmp_u_f32_e64 s[78:79], v30, v30                         // 000000008944: D048004E 00023D1E
	v_bfe_u32 v208, v30, 16, 1                                 // 00000000894C: D1C800D0 0205211E
	v_add3_u32 v208, v30, v208, v211                           // 000000008954: D1FF00D0 074FA11E
	v_cndmask_b32_e64 v28, v208, v210, s[78:79]                // 00000000895C: D100001C 013BA5D0
	v_lshrrev_b32_e32 v28, 16, v28                             // 000000008964: 20383890
	v_cmp_u_f32_e64 s[78:79], v31, v31                         // 000000008968: D048004E 00023F1F
	v_bfe_u32 v208, v31, 16, 1                                 // 000000008970: D1C800D0 0205211F
	v_add3_u32 v208, v31, v208, v211                           // 000000008978: D1FF00D0 074FA11F
	v_cndmask_b32_e64 v29, v208, v210, s[78:79]                // 000000008980: D100001D 013BA5D0
	v_and_or_b32 v166, v29, v209, v28                          // 000000008988: D20100A6 0473A31D
	v_mov_b32_e32 v30, v174                                    // 000000008990: 7E3C03AE
	v_mov_b32_e32 v31, v175                                    // 000000008994: 7E3E03AF
	v_cmp_u_f32_e64 s[78:79], v30, v30                         // 000000008998: D048004E 00023D1E
	v_bfe_u32 v208, v30, 16, 1                                 // 0000000089A0: D1C800D0 0205211E
	v_add3_u32 v208, v30, v208, v211                           // 0000000089A8: D1FF00D0 074FA11E
	v_cndmask_b32_e64 v28, v208, v210, s[78:79]                // 0000000089B0: D100001C 013BA5D0
	v_lshrrev_b32_e32 v28, 16, v28                             // 0000000089B8: 20383890
	v_cmp_u_f32_e64 s[78:79], v31, v31                         // 0000000089BC: D048004E 00023F1F
	v_bfe_u32 v208, v31, 16, 1                                 // 0000000089C4: D1C800D0 0205211F
	v_add3_u32 v208, v31, v208, v211                           // 0000000089CC: D1FF00D0 074FA11F
	v_cndmask_b32_e64 v29, v208, v210, s[78:79]                // 0000000089D4: D100001D 013BA5D0
	v_and_or_b32 v167, v29, v209, v28                          // 0000000089DC: D20100A7 0473A31D
	v_mov_b32_e32 v30, v176                                    // 0000000089E4: 7E3C03B0
	v_mov_b32_e32 v31, v177                                    // 0000000089E8: 7E3E03B1
	v_cmp_u_f32_e64 s[78:79], v30, v30                         // 0000000089EC: D048004E 00023D1E
	v_bfe_u32 v208, v30, 16, 1                                 // 0000000089F4: D1C800D0 0205211E
	v_add3_u32 v208, v30, v208, v211                           // 0000000089FC: D1FF00D0 074FA11E
	v_cndmask_b32_e64 v28, v208, v210, s[78:79]                // 000000008A04: D100001C 013BA5D0
	v_lshrrev_b32_e32 v28, 16, v28                             // 000000008A0C: 20383890
	v_cmp_u_f32_e64 s[78:79], v31, v31                         // 000000008A10: D048004E 00023F1F
	v_bfe_u32 v208, v31, 16, 1                                 // 000000008A18: D1C800D0 0205211F
	v_add3_u32 v208, v31, v208, v211                           // 000000008A20: D1FF00D0 074FA11F
	v_cndmask_b32_e64 v29, v208, v210, s[78:79]                // 000000008A28: D100001D 013BA5D0
	v_and_or_b32 v168, v29, v209, v28                          // 000000008A30: D20100A8 0473A31D
	v_mov_b32_e32 v30, v178                                    // 000000008A38: 7E3C03B2
	v_mov_b32_e32 v31, v179                                    // 000000008A3C: 7E3E03B3
	v_cmp_u_f32_e64 s[78:79], v30, v30                         // 000000008A40: D048004E 00023D1E
	v_bfe_u32 v208, v30, 16, 1                                 // 000000008A48: D1C800D0 0205211E
	v_add3_u32 v208, v30, v208, v211                           // 000000008A50: D1FF00D0 074FA11E
	v_cndmask_b32_e64 v28, v208, v210, s[78:79]                // 000000008A58: D100001C 013BA5D0
	v_lshrrev_b32_e32 v28, 16, v28                             // 000000008A60: 20383890
	v_cmp_u_f32_e64 s[78:79], v31, v31                         // 000000008A64: D048004E 00023F1F
	v_bfe_u32 v208, v31, 16, 1                                 // 000000008A6C: D1C800D0 0205211F
	v_add3_u32 v208, v31, v208, v211                           // 000000008A74: D1FF00D0 074FA11F
	v_cndmask_b32_e64 v29, v208, v210, s[78:79]                // 000000008A7C: D100001D 013BA5D0
	v_and_or_b32 v169, v29, v209, v28                          // 000000008A84: D20100A9 0473A31D
	v_mov_b32_e32 v30, v180                                    // 000000008A8C: 7E3C03B4
	v_mov_b32_e32 v31, v181                                    // 000000008A90: 7E3E03B5
	v_cmp_u_f32_e64 s[78:79], v30, v30                         // 000000008A94: D048004E 00023D1E
	v_bfe_u32 v208, v30, 16, 1                                 // 000000008A9C: D1C800D0 0205211E
	v_add3_u32 v208, v30, v208, v211                           // 000000008AA4: D1FF00D0 074FA11E
	v_cndmask_b32_e64 v28, v208, v210, s[78:79]                // 000000008AAC: D100001C 013BA5D0
	v_lshrrev_b32_e32 v28, 16, v28                             // 000000008AB4: 20383890
	v_cmp_u_f32_e64 s[78:79], v31, v31                         // 000000008AB8: D048004E 00023F1F
	v_bfe_u32 v208, v31, 16, 1                                 // 000000008AC0: D1C800D0 0205211F
	v_add3_u32 v208, v31, v208, v211                           // 000000008AC8: D1FF00D0 074FA11F
	v_cndmask_b32_e64 v29, v208, v210, s[78:79]                // 000000008AD0: D100001D 013BA5D0
	v_and_or_b32 v170, v29, v209, v28                          // 000000008AD8: D20100AA 0473A31D
	v_mov_b32_e32 v30, v182                                    // 000000008AE0: 7E3C03B6
	v_mov_b32_e32 v31, v183                                    // 000000008AE4: 7E3E03B7
	v_cmp_u_f32_e64 s[78:79], v30, v30                         // 000000008AE8: D048004E 00023D1E
	v_bfe_u32 v208, v30, 16, 1                                 // 000000008AF0: D1C800D0 0205211E
	v_add3_u32 v208, v30, v208, v211                           // 000000008AF8: D1FF00D0 074FA11E
	v_cndmask_b32_e64 v28, v208, v210, s[78:79]                // 000000008B00: D100001C 013BA5D0
	v_lshrrev_b32_e32 v28, 16, v28                             // 000000008B08: 20383890
	v_cmp_u_f32_e64 s[78:79], v31, v31                         // 000000008B0C: D048004E 00023F1F
	v_bfe_u32 v208, v31, 16, 1                                 // 000000008B14: D1C800D0 0205211F
	v_add3_u32 v208, v31, v208, v211                           // 000000008B1C: D1FF00D0 074FA11F
	v_cndmask_b32_e64 v29, v208, v210, s[78:79]                // 000000008B24: D100001D 013BA5D0
	v_and_or_b32 v171, v29, v209, v28                          // 000000008B2C: D20100AB 0473A31D
	v_mov_b32_e32 v30, v184                                    // 000000008B34: 7E3C03B8
	v_mov_b32_e32 v31, v185                                    // 000000008B38: 7E3E03B9
	v_cmp_u_f32_e64 s[78:79], v30, v30                         // 000000008B3C: D048004E 00023D1E
	v_bfe_u32 v208, v30, 16, 1                                 // 000000008B44: D1C800D0 0205211E
	v_add3_u32 v208, v30, v208, v211                           // 000000008B4C: D1FF00D0 074FA11E
	v_cndmask_b32_e64 v28, v208, v210, s[78:79]                // 000000008B54: D100001C 013BA5D0
	v_lshrrev_b32_e32 v28, 16, v28                             // 000000008B5C: 20383890
	v_cmp_u_f32_e64 s[78:79], v31, v31                         // 000000008B60: D048004E 00023F1F
	v_bfe_u32 v208, v31, 16, 1                                 // 000000008B68: D1C800D0 0205211F
	v_add3_u32 v208, v31, v208, v211                           // 000000008B70: D1FF00D0 074FA11F
	v_cndmask_b32_e64 v29, v208, v210, s[78:79]                // 000000008B78: D100001D 013BA5D0
	v_and_or_b32 v172, v29, v209, v28                          // 000000008B80: D20100AC 0473A31D
	v_mov_b32_e32 v30, v186                                    // 000000008B88: 7E3C03BA
	v_mov_b32_e32 v31, v187                                    // 000000008B8C: 7E3E03BB
	v_cmp_u_f32_e64 s[78:79], v30, v30                         // 000000008B90: D048004E 00023D1E
	v_bfe_u32 v208, v30, 16, 1                                 // 000000008B98: D1C800D0 0205211E
	v_add3_u32 v208, v30, v208, v211                           // 000000008BA0: D1FF00D0 074FA11E
	v_cndmask_b32_e64 v28, v208, v210, s[78:79]                // 000000008BA8: D100001C 013BA5D0
	v_lshrrev_b32_e32 v28, 16, v28                             // 000000008BB0: 20383890
	v_cmp_u_f32_e64 s[78:79], v31, v31                         // 000000008BB4: D048004E 00023F1F
	v_bfe_u32 v208, v31, 16, 1                                 // 000000008BBC: D1C800D0 0205211F
	v_add3_u32 v208, v31, v208, v211                           // 000000008BC4: D1FF00D0 074FA11F
	v_cndmask_b32_e64 v29, v208, v210, s[78:79]                // 000000008BCC: D100001D 013BA5D0
	v_and_or_b32 v173, v29, v209, v28                          // 000000008BD4: D20100AD 0473A31D
	v_mov_b32_e32 v30, v188                                    // 000000008BDC: 7E3C03BC
	v_mov_b32_e32 v31, v189                                    // 000000008BE0: 7E3E03BD
	v_cmp_u_f32_e64 s[78:79], v30, v30                         // 000000008BE4: D048004E 00023D1E
	v_bfe_u32 v208, v30, 16, 1                                 // 000000008BEC: D1C800D0 0205211E
	v_add3_u32 v208, v30, v208, v211                           // 000000008BF4: D1FF00D0 074FA11E
	v_cndmask_b32_e64 v28, v208, v210, s[78:79]                // 000000008BFC: D100001C 013BA5D0
	v_lshrrev_b32_e32 v28, 16, v28                             // 000000008C04: 20383890
	v_cmp_u_f32_e64 s[78:79], v31, v31                         // 000000008C08: D048004E 00023F1F
	v_bfe_u32 v208, v31, 16, 1                                 // 000000008C10: D1C800D0 0205211F
	v_add3_u32 v208, v31, v208, v211                           // 000000008C18: D1FF00D0 074FA11F
	v_cndmask_b32_e64 v29, v208, v210, s[78:79]                // 000000008C20: D100001D 013BA5D0
	v_and_or_b32 v174, v29, v209, v28                          // 000000008C28: D20100AE 0473A31D
	v_mov_b32_e32 v30, v190                                    // 000000008C30: 7E3C03BE
	v_mov_b32_e32 v31, v191                                    // 000000008C34: 7E3E03BF
	v_cmp_u_f32_e64 s[78:79], v30, v30                         // 000000008C38: D048004E 00023D1E
	v_bfe_u32 v208, v30, 16, 1                                 // 000000008C40: D1C800D0 0205211E
	v_add3_u32 v208, v30, v208, v211                           // 000000008C48: D1FF00D0 074FA11E
	v_cndmask_b32_e64 v28, v208, v210, s[78:79]                // 000000008C50: D100001C 013BA5D0
	v_lshrrev_b32_e32 v28, 16, v28                             // 000000008C58: 20383890
	v_cmp_u_f32_e64 s[78:79], v31, v31                         // 000000008C5C: D048004E 00023F1F
	v_bfe_u32 v208, v31, 16, 1                                 // 000000008C64: D1C800D0 0205211F
	v_add3_u32 v208, v31, v208, v211                           // 000000008C6C: D1FF00D0 074FA11F
	v_cndmask_b32_e64 v29, v208, v210, s[78:79]                // 000000008C74: D100001D 013BA5D0
	v_and_or_b32 v175, v29, v209, v28                          // 000000008C7C: D20100AF 0473A31D
	v_mov_b32_e32 v30, v192                                    // 000000008C84: 7E3C03C0
	v_mov_b32_e32 v31, v193                                    // 000000008C88: 7E3E03C1
	v_cmp_u_f32_e64 s[78:79], v30, v30                         // 000000008C8C: D048004E 00023D1E
	v_bfe_u32 v208, v30, 16, 1                                 // 000000008C94: D1C800D0 0205211E
	v_add3_u32 v208, v30, v208, v211                           // 000000008C9C: D1FF00D0 074FA11E
	v_cndmask_b32_e64 v28, v208, v210, s[78:79]                // 000000008CA4: D100001C 013BA5D0
	v_lshrrev_b32_e32 v28, 16, v28                             // 000000008CAC: 20383890
	v_cmp_u_f32_e64 s[78:79], v31, v31                         // 000000008CB0: D048004E 00023F1F
	v_bfe_u32 v208, v31, 16, 1                                 // 000000008CB8: D1C800D0 0205211F
	v_add3_u32 v208, v31, v208, v211                           // 000000008CC0: D1FF00D0 074FA11F
	v_cndmask_b32_e64 v29, v208, v210, s[78:79]                // 000000008CC8: D100001D 013BA5D0
	v_and_or_b32 v176, v29, v209, v28                          // 000000008CD0: D20100B0 0473A31D
	v_mov_b32_e32 v30, v194                                    // 000000008CD8: 7E3C03C2
	v_mov_b32_e32 v31, v195                                    // 000000008CDC: 7E3E03C3
	v_cmp_u_f32_e64 s[78:79], v30, v30                         // 000000008CE0: D048004E 00023D1E
	v_bfe_u32 v208, v30, 16, 1                                 // 000000008CE8: D1C800D0 0205211E
	v_add3_u32 v208, v30, v208, v211                           // 000000008CF0: D1FF00D0 074FA11E
	v_cndmask_b32_e64 v28, v208, v210, s[78:79]                // 000000008CF8: D100001C 013BA5D0
	v_lshrrev_b32_e32 v28, 16, v28                             // 000000008D00: 20383890
	v_cmp_u_f32_e64 s[78:79], v31, v31                         // 000000008D04: D048004E 00023F1F
	v_bfe_u32 v208, v31, 16, 1                                 // 000000008D0C: D1C800D0 0205211F
	v_add3_u32 v208, v31, v208, v211                           // 000000008D14: D1FF00D0 074FA11F
	v_cndmask_b32_e64 v29, v208, v210, s[78:79]                // 000000008D1C: D100001D 013BA5D0
	v_and_or_b32 v177, v29, v209, v28                          // 000000008D24: D20100B1 0473A31D
	v_mov_b32_e32 v30, v196                                    // 000000008D2C: 7E3C03C4
	v_mov_b32_e32 v31, v197                                    // 000000008D30: 7E3E03C5
	v_cmp_u_f32_e64 s[78:79], v30, v30                         // 000000008D34: D048004E 00023D1E
	v_bfe_u32 v208, v30, 16, 1                                 // 000000008D3C: D1C800D0 0205211E
	v_add3_u32 v208, v30, v208, v211                           // 000000008D44: D1FF00D0 074FA11E
	v_cndmask_b32_e64 v28, v208, v210, s[78:79]                // 000000008D4C: D100001C 013BA5D0
	v_lshrrev_b32_e32 v28, 16, v28                             // 000000008D54: 20383890
	v_cmp_u_f32_e64 s[78:79], v31, v31                         // 000000008D58: D048004E 00023F1F
	v_bfe_u32 v208, v31, 16, 1                                 // 000000008D60: D1C800D0 0205211F
	v_add3_u32 v208, v31, v208, v211                           // 000000008D68: D1FF00D0 074FA11F
	v_cndmask_b32_e64 v29, v208, v210, s[78:79]                // 000000008D70: D100001D 013BA5D0
	v_and_or_b32 v178, v29, v209, v28                          // 000000008D78: D20100B2 0473A31D
	v_mov_b32_e32 v30, v198                                    // 000000008D80: 7E3C03C6
	v_mov_b32_e32 v31, v199                                    // 000000008D84: 7E3E03C7
	v_cmp_u_f32_e64 s[78:79], v30, v30                         // 000000008D88: D048004E 00023D1E
	v_bfe_u32 v208, v30, 16, 1                                 // 000000008D90: D1C800D0 0205211E
	v_add3_u32 v208, v30, v208, v211                           // 000000008D98: D1FF00D0 074FA11E
	v_cndmask_b32_e64 v28, v208, v210, s[78:79]                // 000000008DA0: D100001C 013BA5D0
	v_lshrrev_b32_e32 v28, 16, v28                             // 000000008DA8: 20383890
	v_cmp_u_f32_e64 s[78:79], v31, v31                         // 000000008DAC: D048004E 00023F1F
	v_bfe_u32 v208, v31, 16, 1                                 // 000000008DB4: D1C800D0 0205211F
	v_add3_u32 v208, v31, v208, v211                           // 000000008DBC: D1FF00D0 074FA11F
	v_cndmask_b32_e64 v29, v208, v210, s[78:79]                // 000000008DC4: D100001D 013BA5D0
	v_and_or_b32 v179, v29, v209, v28                          // 000000008DCC: D20100B3 0473A31D
	v_mov_b32_e32 v30, v200                                    // 000000008DD4: 7E3C03C8
	v_mov_b32_e32 v31, v201                                    // 000000008DD8: 7E3E03C9
	v_cmp_u_f32_e64 s[78:79], v30, v30                         // 000000008DDC: D048004E 00023D1E
	v_bfe_u32 v208, v30, 16, 1                                 // 000000008DE4: D1C800D0 0205211E
	v_add3_u32 v208, v30, v208, v211                           // 000000008DEC: D1FF00D0 074FA11E
	v_cndmask_b32_e64 v28, v208, v210, s[78:79]                // 000000008DF4: D100001C 013BA5D0
	v_lshrrev_b32_e32 v28, 16, v28                             // 000000008DFC: 20383890
	v_cmp_u_f32_e64 s[78:79], v31, v31                         // 000000008E00: D048004E 00023F1F
	v_bfe_u32 v208, v31, 16, 1                                 // 000000008E08: D1C800D0 0205211F
	v_add3_u32 v208, v31, v208, v211                           // 000000008E10: D1FF00D0 074FA11F
	v_cndmask_b32_e64 v29, v208, v210, s[78:79]                // 000000008E18: D100001D 013BA5D0
	v_and_or_b32 v180, v29, v209, v28                          // 000000008E20: D20100B4 0473A31D
	v_mov_b32_e32 v30, v202                                    // 000000008E28: 7E3C03CA
	v_mov_b32_e32 v31, v203                                    // 000000008E2C: 7E3E03CB
	v_cmp_u_f32_e64 s[78:79], v30, v30                         // 000000008E30: D048004E 00023D1E
	v_bfe_u32 v208, v30, 16, 1                                 // 000000008E38: D1C800D0 0205211E
	v_add3_u32 v208, v30, v208, v211                           // 000000008E40: D1FF00D0 074FA11E
	v_cndmask_b32_e64 v28, v208, v210, s[78:79]                // 000000008E48: D100001C 013BA5D0
	v_lshrrev_b32_e32 v28, 16, v28                             // 000000008E50: 20383890
	v_cmp_u_f32_e64 s[78:79], v31, v31                         // 000000008E54: D048004E 00023F1F
	v_bfe_u32 v208, v31, 16, 1                                 // 000000008E5C: D1C800D0 0205211F
	v_add3_u32 v208, v31, v208, v211                           // 000000008E64: D1FF00D0 074FA11F
	v_cndmask_b32_e64 v29, v208, v210, s[78:79]                // 000000008E6C: D100001D 013BA5D0
	v_and_or_b32 v181, v29, v209, v28                          // 000000008E74: D20100B5 0473A31D
	v_mov_b32_e32 v30, v204                                    // 000000008E7C: 7E3C03CC
	v_mov_b32_e32 v31, v205                                    // 000000008E80: 7E3E03CD
	v_cmp_u_f32_e64 s[78:79], v30, v30                         // 000000008E84: D048004E 00023D1E
	v_bfe_u32 v208, v30, 16, 1                                 // 000000008E8C: D1C800D0 0205211E
	v_add3_u32 v208, v30, v208, v211                           // 000000008E94: D1FF00D0 074FA11E
	v_cndmask_b32_e64 v28, v208, v210, s[78:79]                // 000000008E9C: D100001C 013BA5D0
	v_lshrrev_b32_e32 v28, 16, v28                             // 000000008EA4: 20383890
	v_cmp_u_f32_e64 s[78:79], v31, v31                         // 000000008EA8: D048004E 00023F1F
	v_bfe_u32 v208, v31, 16, 1                                 // 000000008EB0: D1C800D0 0205211F
	v_add3_u32 v208, v31, v208, v211                           // 000000008EB8: D1FF00D0 074FA11F
	v_cndmask_b32_e64 v29, v208, v210, s[78:79]                // 000000008EC0: D100001D 013BA5D0
	v_and_or_b32 v182, v29, v209, v28                          // 000000008EC8: D20100B6 0473A31D
	v_mov_b32_e32 v30, v206                                    // 000000008ED0: 7E3C03CE
	v_mov_b32_e32 v31, v207                                    // 000000008ED4: 7E3E03CF
	v_cmp_u_f32_e64 s[78:79], v30, v30                         // 000000008ED8: D048004E 00023D1E
	v_bfe_u32 v208, v30, 16, 1                                 // 000000008EE0: D1C800D0 0205211E
	v_add3_u32 v208, v30, v208, v211                           // 000000008EE8: D1FF00D0 074FA11E
	v_cndmask_b32_e64 v28, v208, v210, s[78:79]                // 000000008EF0: D100001C 013BA5D0
	v_lshrrev_b32_e32 v28, 16, v28                             // 000000008EF8: 20383890
	v_cmp_u_f32_e64 s[78:79], v31, v31                         // 000000008EFC: D048004E 00023F1F
	v_bfe_u32 v208, v31, 16, 1                                 // 000000008F04: D1C800D0 0205211F
	v_add3_u32 v208, v31, v208, v211                           // 000000008F0C: D1FF00D0 074FA11F
	v_cndmask_b32_e64 v29, v208, v210, s[78:79]                // 000000008F14: D100001D 013BA5D0
	v_and_or_b32 v183, v29, v209, v28                          // 000000008F1C: D20100B7 0473A31D
	ds_write_b64 v25, v[160:161]                               // 000000008F24: D89A0000 0000A019
	ds_write_b64 v25, v[162:163] offset:544                    // 000000008F2C: D89A0220 0000A219
	ds_write_b64 v25, v[164:165] offset:1088                   // 000000008F34: D89A0440 0000A419
	ds_write_b64 v25, v[166:167] offset:1632                   // 000000008F3C: D89A0660 0000A619
	ds_write_b64 v25, v[168:169] offset:2176                   // 000000008F44: D89A0880 0000A819
	ds_write_b64 v25, v[170:171] offset:2720                   // 000000008F4C: D89A0AA0 0000AA19
	ds_write_b64 v25, v[172:173] offset:3264                   // 000000008F54: D89A0CC0 0000AC19
	ds_write_b64 v25, v[174:175] offset:3808                   // 000000008F5C: D89A0EE0 0000AE19
	ds_write_b64 v25, v[176:177] offset:4352                   // 000000008F64: D89A1100 0000B019
	ds_write_b64 v25, v[178:179] offset:4896                   // 000000008F6C: D89A1320 0000B219
	ds_write_b64 v25, v[180:181] offset:5440                   // 000000008F74: D89A1540 0000B419
	ds_write_b64 v25, v[182:183] offset:5984                   // 000000008F7C: D89A1760 0000B619
	s_waitcnt lgkmcnt(0)                                       // 000000008F84: BF8CC07F
	s_barrier                                                  // 000000008F88: BF8A0000
	ds_read_b64 v[160:161], v24                                // 000000008F8C: D8EC0000 A0000018
	ds_read_b64 v[162:163], v24 offset:128                     // 000000008F94: D8EC0080 A2000018
	ds_read_b64 v[164:165], v24 offset:64                      // 000000008F9C: D8EC0040 A4000018
	ds_read_b64 v[166:167], v24 offset:192                     // 000000008FA4: D8EC00C0 A6000018
	ds_read_b64 v[168:169], v24 offset:2176                    // 000000008FAC: D8EC0880 A8000018
	ds_read_b64 v[170:171], v24 offset:2304                    // 000000008FB4: D8EC0900 AA000018
	ds_read_b64 v[172:173], v24 offset:2240                    // 000000008FBC: D8EC08C0 AC000018
	ds_read_b64 v[174:175], v24 offset:2368                    // 000000008FC4: D8EC0940 AE000018
	ds_read_b64 v[176:177], v24 offset:4352                    // 000000008FCC: D8EC1100 B0000018
	ds_read_b64 v[178:179], v24 offset:4480                    // 000000008FD4: D8EC1180 B2000018
	ds_read_b64 v[180:181], v24 offset:4416                    // 000000008FDC: D8EC1140 B4000018
	ds_read_b64 v[182:183], v24 offset:4544                    // 000000008FE4: D8EC11C0 B6000018
	s_waitcnt lgkmcnt(0)                                       // 000000008FEC: BF8CC07F
	buffer_store_dwordx4 v[160:163], v5, s[40:43], 0 idxen     // 000000008FF0: E07C2000 800AA005
	v_add_u32_e32 v5, 32, v5                                   // 000000008FF8: 680A0AA0
	buffer_store_dwordx4 v[164:167], v6, s[40:43], 0 idxen     // 000000008FFC: E07C2000 800AA406
	v_add_u32_e32 v6, 32, v6                                   // 000000009004: 680C0CA0
	buffer_store_dwordx4 v[168:171], v5, s[40:43], 0 idxen     // 000000009008: E07C2000 800AA805
	v_add_u32_e32 v5, 32, v5                                   // 000000009010: 680A0AA0
	buffer_store_dwordx4 v[172:175], v6, s[40:43], 0 idxen     // 000000009014: E07C2000 800AAC06
	v_add_u32_e32 v6, 32, v6                                   // 00000000901C: 680C0CA0
	s_mov_b64 exec, s[92:93]                                   // 000000009020: BEFE015C
	buffer_store_dwordx4 v[176:179], v5, s[40:43], 0 idxen     // 000000009024: E07C2000 800AB005
	s_mov_b32 exec_lo, -1                                      // 00000000902C: BEFE00C1
	s_mov_b32 exec_hi, -1                                      // 000000009030: BEFF00C1
	v_add_u32_e32 v5, 32, v5                                   // 000000009034: 680A0AA0
	s_mov_b64 exec, s[92:93]                                   // 000000009038: BEFE015C
	buffer_store_dwordx4 v[180:183], v6, s[40:43], 0 idxen     // 00000000903C: E07C2000 800AB406
	s_mov_b32 exec_lo, -1                                      // 000000009044: BEFE00C1
	s_mov_b32 exec_hi, -1                                      // 000000009048: BEFF00C1
	v_add_u32_e32 v6, 32, v6                                   // 00000000904C: 680C0CA0
	s_waitcnt vmcnt(0) expcnt(0) lgkmcnt(0)                    // 000000009050: BF8C0000
	s_sub_i32 s60, s77, 1                                      // 000000009054: 81BC814D
	s_sub_i32 s2, s60, s2                                      // 000000009058: 8182023C
	s_addk_i32 s75, 0x1                                        // 00000000905C: B74B0001
	s_cmp_lt_i32 s75, s76                                      // 000000009060: BF044C4B
	s_cbranch_scc1 label_0168                                  // 000000009064: BF85ECCE
	s_endpgm                                                   // 000000009068: BF810000
